;; amdgpu-corpus repo=ROCm/aiter kind=harvested arch=n/a opt=n/a

/root/src/amdgpu-assembly/repos/ROCm__aiter/hsa/gfx950/fmoe_2stages/fmoe_stage1_bf16_pertokenInt8_g1u1_144x128_pf2.co:	file format elf64-amdgpu

Disassembly of section .text:

0000000000002a00 <_ZN5aiter46fmoe_stage1_bf16_pertokenInt8_g1u1_144x128_pf2E>:
	s_and_b32 s1, s1, 0xffff                                   // 000000002A00: 8601FF01 0000FFFF
	s_load_dwordx2 s[8:9], s[0:1], 0x0                         // 000000002A08: C0060200 00000000
	s_load_dwordx2 s[20:21], s[0:1], 0x10                      // 000000002A10: C0060500 00000010
	s_load_dwordx2 s[24:25], s[0:1], 0x20                      // 000000002A18: C0060600 00000020
	s_load_dwordx2 s[48:49], s[0:1], 0x30                      // 000000002A20: C0060C00 00000030
	s_load_dwordx2 s[28:29], s[0:1], 0x40                      // 000000002A28: C0060700 00000040
	s_load_dwordx2 s[32:33], s[0:1], 0x50                      // 000000002A30: C0060800 00000050
	s_load_dwordx2 s[36:37], s[0:1], 0x60                      // 000000002A38: C0060900 00000060
	s_load_dwordx2 s[12:13], s[0:1], 0x70                      // 000000002A40: C0060300 00000070
	s_load_dwordx2 s[44:45], s[0:1], 0x80                      // 000000002A48: C0060B00 00000080
	s_mov_b32 s89, 0                                           // 000000002A50: BED90080
	s_load_dword s64, s[0:1], 0x90                             // 000000002A54: C0021000 00000090
	s_load_dword s65, s[0:1], 0xa0                             // 000000002A5C: C0021040 000000A0
	s_load_dword s66, s[0:1], 0xb0                             // 000000002A64: C0021080 000000B0
	s_load_dword s67, s[0:1], 0xc0                             // 000000002A6C: C00210C0 000000C0
	s_load_dword s68, s[0:1], 0xd0                             // 000000002A74: C0021100 000000D0
	s_load_dword s69, s[0:1], 0xe0                             // 000000002A7C: C0021140 000000E0
	s_load_dword s71, s[0:1], 0xf0                             // 000000002A84: C00211C0 000000F0
	s_load_dword s72, s[0:1], 0x100                            // 000000002A8C: C0021200 00000100
	s_load_dword s74, s[0:1], 0x110                            // 000000002A94: C0021280 00000110
	s_load_dword s76, s[0:1], 0x120                            // 000000002A9C: C0021300 00000120
	s_load_dword s56, s[0:1], 0x130                            // 000000002AA4: C0020E00 00000130
	s_load_dword s88, s[0:1], 0x140                            // 000000002AAC: C0021600 00000140
	s_load_dword s89, s[0:1], 0x150                            // 000000002AB4: C0021640 00000150
	v_lshrrev_b32_e32 v1, 10, v0                               // 000000002ABC: 2002008A
	v_lshrrev_b32_e32 v2, 10, v1                               // 000000002AC0: 2004028A
	v_and_b32_e32 v2, 0x3ff, v2                                // 000000002AC4: 260404FF 000003FF
	v_and_b32_e32 v1, 0x3ff, v1                                // 000000002ACC: 260202FF 000003FF
	v_and_b32_e32 v0, 0x3ff, v0                                // 000000002AD4: 260000FF 000003FF
	v_lshrrev_b32_e32 v3, 6, v0                                // 000000002ADC: 20060086
	v_and_b32_e32 v0, 63, v0                                   // 000000002AE0: 260000BF
	s_mov_b32 s2, s2                                           // 000000002AE4: BE820002
	s_mov_b32 s3, s3                                           // 000000002AE8: BE830003
	s_mov_b32 s4, s4                                           // 000000002AEC: BE840004
	v_readfirstlane_b32 s7, v3                                 // 000000002AF0: 7E0E0503
	s_waitcnt lgkmcnt(0)                                       // 000000002AF4: BF8CC07F
	s_and_b32 s49, s49, 0xffff                                 // 000000002AF8: 8631FF31 0000FFFF
	s_load_dword s48, s[48:49], 0x0                            // 000000002B00: C0020C18 00000000
	s_and_b32 s45, s45, 0xffff                                 // 000000002B08: 862DFF2D 0000FFFF
	s_and_b32 s9, s9, 0xffff                                   // 000000002B10: 8609FF09 0000FFFF
	s_mul_i32 s60, s66, s68                                    // 000000002B18: 923C4442
	s_mul_i32 s61, s66, 4                                      // 000000002B1C: 923D8442
	s_mov_b32 s22, s60                                         // 000000002B20: BE96003C
	s_mov_b32 s26, -16                                         // 000000002B24: BE9A00D0
	s_mov_b32 s30, s61                                         // 000000002B28: BE9E003D
	s_mov_b32 s14, 0x240                                       // 000000002B2C: BE8E00FF 00000240
	s_mov_b32 s38, -16                                         // 000000002B34: BEA600D0
	s_mov_b32 s10, -16                                         // 000000002B38: BE8A00D0
	s_mov_b32 s34, 0x200                                       // 000000002B3C: BEA200FF 00000200
	s_mov_b32 s23, 0x20000                                     // 000000002B44: BE9700FF 00020000
	s_mov_b32 s27, 0x20000                                     // 000000002B4C: BE9B00FF 00020000
	s_mov_b32 s31, 0x20000                                     // 000000002B54: BE9F00FF 00020000
	s_mov_b32 s35, 0x20000                                     // 000000002B5C: BEA300FF 00020000
	s_mov_b32 s15, 0x20000                                     // 000000002B64: BE8F00FF 00020000
	s_mov_b32 s39, 0x20000                                     // 000000002B6C: BEA700FF 00020000
	s_mov_b32 s11, 0x20000                                     // 000000002B74: BE8B00FF 00020000
	s_and_b32 s21, s21, 0xffff                                 // 000000002B7C: 8615FF15 0000FFFF
	s_and_b32 s25, s25, 0xffff                                 // 000000002B84: 8619FF19 0000FFFF
	s_and_b32 s29, s29, 0xffff                                 // 000000002B8C: 861DFF1D 0000FFFF
	s_and_b32 s33, s33, 0xffff                                 // 000000002B94: 8621FF21 0000FFFF
	s_and_b32 s13, s13, 0xffff                                 // 000000002B9C: 860DFF0D 0000FFFF
	s_and_b32 s37, s37, 0xffff                                 // 000000002BA4: 8625FF25 0000FFFF
	s_or_b32 s21, s21, 0x40000                                 // 000000002BAC: 8715FF15 00040000
	s_or_b32 s25, s25, 0x40000                                 // 000000002BB4: 8719FF19 00040000
	s_or_b32 s29, s29, 0x40000                                 // 000000002BBC: 871DFF1D 00040000
	s_or_b32 s33, s33, 0x40000                                 // 000000002BC4: 8721FF21 00040000
	s_or_b32 s13, s13, 0x40000                                 // 000000002BCC: 870DFF0D 00040000
	s_or_b32 s37, s37, 0x40000                                 // 000000002BD4: 8725FF25 00040000
	v_accvgpr_write_b32 a175, 0                                // 000000002BDC: D3D940AF 18000080
	v_mov_b32_e32 v227, 0                                      // 000000002BE4: 7FC60280
	s_waitcnt lgkmcnt(0)                                       // 000000002BE8: BF8CC07F
	s_mul_i32 s60, s3, 0x90                                    // 000000002BEC: 923CFF03 00000090
	s_cmp_lt_i32 s60, s48                                      // 000000002BF4: BF04303C
	s_cbranch_scc0 label_3676                                  // 000000002BF8: BF8435F4
	s_mov_b32 s80, 0                                           // 000000002BFC: BED00080
	s_lshr_b32 s81, s64, s88                                   // 000000002C00: 8F515840
	s_mul_i32 s60, s3, 4                                       // 000000002C04: 923C8403
	s_add_u32 s44, s60, s44                                    // 000000002C08: 802C2C3C
	s_addc_u32 s45, 0, s45                                     // 000000002C0C: 822D2D80
	s_load_dword s5, s[44:45], 0x0                             // 000000002C10: C0020156 00000000
	s_mul_i32 s60, s3, 0x90                                    // 000000002C18: 923CFF03 00000090
	s_mul_i32 s60, 4, s60                                      // 000000002C20: 923C3C84
	s_add_u32 s12, s60, s12                                    // 000000002C24: 800C0C3C
	s_addc_u32 s13, 0, s13                                     // 000000002C28: 820D0D80
	v_and_b32_e32 v4, 15, v0                                   // 000000002C2C: 2608008F
	v_lshlrev_b32_e32 v4, 2, v4                                // 000000002C30: 24080882
	buffer_load_dword v28, v4, s[12:15], 0 offen               // 000000002C34: E0501000 80031C04
	v_add_u32_e32 v4, 64, v4                                   // 000000002C3C: 680808C0
	buffer_load_dword v29, v4, s[12:15], 0 offen               // 000000002C40: E0501000 80031D04
	v_add_u32_e32 v4, 64, v4                                   // 000000002C48: 680808C0
	buffer_load_dword v30, v4, s[12:15], 0 offen               // 000000002C4C: E0501000 80031E04
	v_add_u32_e32 v4, 64, v4                                   // 000000002C54: 680808C0
	buffer_load_dword v31, v4, s[12:15], 0 offen               // 000000002C58: E0501000 80031F04
	v_add_u32_e32 v4, 64, v4                                   // 000000002C60: 680808C0
	buffer_load_dword v32, v4, s[12:15], 0 offen               // 000000002C64: E0501000 80032004
	v_add_u32_e32 v4, 64, v4                                   // 000000002C6C: 680808C0
	buffer_load_dword v33, v4, s[12:15], 0 offen               // 000000002C70: E0501000 80032104
	v_add_u32_e32 v4, 64, v4                                   // 000000002C78: 680808C0
	buffer_load_dword v34, v4, s[12:15], 0 offen               // 000000002C7C: E0501000 80032204
	v_add_u32_e32 v4, 64, v4                                   // 000000002C84: 680808C0
	buffer_load_dword v35, v4, s[12:15], 0 offen               // 000000002C88: E0501000 80032304
	v_add_u32_e32 v4, 64, v4                                   // 000000002C90: 680808C0
	buffer_load_dword v36, v4, s[12:15], 0 offen               // 000000002C94: E0501000 80032404
	v_add_u32_e32 v4, 64, v4                                   // 000000002C9C: 680808C0
	s_mul_i32 s60, 4, s7                                       // 000000002CA0: 923C0784
	v_lshlrev_b32_e32 v4, 4, v0                                // 000000002CA4: 24080084
	v_add_u32_e32 v4, s60, v4                                  // 000000002CA8: 6808083C
	buffer_load_dword v3, v4, s[12:15], 0 offen                // 000000002CAC: E0501000 80030304
	v_mov_b32_e32 v84, 0                                       // 000000002CB4: 7EA80280
	v_mov_b32_e32 v156, 0                                      // 000000002CB8: 7F380280
	v_mov_b32_e32 v85, 0                                       // 000000002CBC: 7EAA0280
	v_mov_b32_e32 v157, 0                                      // 000000002CC0: 7F3A0280
	v_mov_b32_e32 v86, 0                                       // 000000002CC4: 7EAC0280
	v_mov_b32_e32 v158, 0                                      // 000000002CC8: 7F3C0280
	v_mov_b32_e32 v87, 0                                       // 000000002CCC: 7EAE0280
	v_mov_b32_e32 v159, 0                                      // 000000002CD0: 7F3E0280
	v_mov_b32_e32 v88, 0                                       // 000000002CD4: 7EB00280
	v_mov_b32_e32 v160, 0                                      // 000000002CD8: 7F400280
	v_mov_b32_e32 v89, 0                                       // 000000002CDC: 7EB20280
	v_mov_b32_e32 v161, 0                                      // 000000002CE0: 7F420280
	v_mov_b32_e32 v90, 0                                       // 000000002CE4: 7EB40280
	v_mov_b32_e32 v162, 0                                      // 000000002CE8: 7F440280
	v_mov_b32_e32 v91, 0                                       // 000000002CEC: 7EB60280
	v_mov_b32_e32 v163, 0                                      // 000000002CF0: 7F460280
	v_mov_b32_e32 v92, 0                                       // 000000002CF4: 7EB80280
	v_mov_b32_e32 v164, 0                                      // 000000002CF8: 7F480280
	v_mov_b32_e32 v93, 0                                       // 000000002CFC: 7EBA0280
	v_mov_b32_e32 v165, 0                                      // 000000002D00: 7F4A0280
	v_mov_b32_e32 v94, 0                                       // 000000002D04: 7EBC0280
	v_mov_b32_e32 v166, 0                                      // 000000002D08: 7F4C0280
	v_mov_b32_e32 v95, 0                                       // 000000002D0C: 7EBE0280
	v_mov_b32_e32 v167, 0                                      // 000000002D10: 7F4E0280
	v_mov_b32_e32 v96, 0                                       // 000000002D14: 7EC00280
	v_mov_b32_e32 v168, 0                                      // 000000002D18: 7F500280
	v_mov_b32_e32 v97, 0                                       // 000000002D1C: 7EC20280
	v_mov_b32_e32 v169, 0                                      // 000000002D20: 7F520280
	v_mov_b32_e32 v98, 0                                       // 000000002D24: 7EC40280
	v_mov_b32_e32 v170, 0                                      // 000000002D28: 7F540280
	v_mov_b32_e32 v99, 0                                       // 000000002D2C: 7EC60280
	v_mov_b32_e32 v171, 0                                      // 000000002D30: 7F560280
	v_mov_b32_e32 v100, 0                                      // 000000002D34: 7EC80280
	v_mov_b32_e32 v172, 0                                      // 000000002D38: 7F580280
	v_mov_b32_e32 v101, 0                                      // 000000002D3C: 7ECA0280
	v_mov_b32_e32 v173, 0                                      // 000000002D40: 7F5A0280
	v_mov_b32_e32 v102, 0                                      // 000000002D44: 7ECC0280
	v_mov_b32_e32 v174, 0                                      // 000000002D48: 7F5C0280
	v_mov_b32_e32 v103, 0                                      // 000000002D4C: 7ECE0280
	v_mov_b32_e32 v175, 0                                      // 000000002D50: 7F5E0280
	v_mov_b32_e32 v104, 0                                      // 000000002D54: 7ED00280
	v_mov_b32_e32 v176, 0                                      // 000000002D58: 7F600280
	v_mov_b32_e32 v105, 0                                      // 000000002D5C: 7ED20280
	v_mov_b32_e32 v177, 0                                      // 000000002D60: 7F620280
	v_mov_b32_e32 v106, 0                                      // 000000002D64: 7ED40280
	v_mov_b32_e32 v178, 0                                      // 000000002D68: 7F640280
	v_mov_b32_e32 v107, 0                                      // 000000002D6C: 7ED60280
	v_mov_b32_e32 v179, 0                                      // 000000002D70: 7F660280
	v_mov_b32_e32 v108, 0                                      // 000000002D74: 7ED80280
	v_mov_b32_e32 v180, 0                                      // 000000002D78: 7F680280
	v_mov_b32_e32 v109, 0                                      // 000000002D7C: 7EDA0280
	v_mov_b32_e32 v181, 0                                      // 000000002D80: 7F6A0280
	v_mov_b32_e32 v110, 0                                      // 000000002D84: 7EDC0280
	v_mov_b32_e32 v182, 0                                      // 000000002D88: 7F6C0280
	v_mov_b32_e32 v111, 0                                      // 000000002D8C: 7EDE0280
	v_mov_b32_e32 v183, 0                                      // 000000002D90: 7F6E0280
	v_mov_b32_e32 v112, 0                                      // 000000002D94: 7EE00280
	v_mov_b32_e32 v184, 0                                      // 000000002D98: 7F700280
	v_mov_b32_e32 v113, 0                                      // 000000002D9C: 7EE20280
	v_mov_b32_e32 v185, 0                                      // 000000002DA0: 7F720280
	v_mov_b32_e32 v114, 0                                      // 000000002DA4: 7EE40280
	v_mov_b32_e32 v186, 0                                      // 000000002DA8: 7F740280
	v_mov_b32_e32 v115, 0                                      // 000000002DAC: 7EE60280
	v_mov_b32_e32 v187, 0                                      // 000000002DB0: 7F760280
	v_mov_b32_e32 v116, 0                                      // 000000002DB4: 7EE80280
	v_mov_b32_e32 v188, 0                                      // 000000002DB8: 7F780280
	v_mov_b32_e32 v117, 0                                      // 000000002DBC: 7EEA0280
	v_mov_b32_e32 v189, 0                                      // 000000002DC0: 7F7A0280
	v_mov_b32_e32 v118, 0                                      // 000000002DC4: 7EEC0280
	v_mov_b32_e32 v190, 0                                      // 000000002DC8: 7F7C0280
	v_mov_b32_e32 v119, 0                                      // 000000002DCC: 7EEE0280
	v_mov_b32_e32 v191, 0                                      // 000000002DD0: 7F7E0280
	v_mov_b32_e32 v120, 0                                      // 000000002DD4: 7EF00280
	v_mov_b32_e32 v192, 0                                      // 000000002DD8: 7F800280
	v_mov_b32_e32 v121, 0                                      // 000000002DDC: 7EF20280
	v_mov_b32_e32 v193, 0                                      // 000000002DE0: 7F820280
	v_mov_b32_e32 v122, 0                                      // 000000002DE4: 7EF40280
	v_mov_b32_e32 v194, 0                                      // 000000002DE8: 7F840280
	v_mov_b32_e32 v123, 0                                      // 000000002DEC: 7EF60280
	v_mov_b32_e32 v195, 0                                      // 000000002DF0: 7F860280
	v_mov_b32_e32 v124, 0                                      // 000000002DF4: 7EF80280
	v_mov_b32_e32 v196, 0                                      // 000000002DF8: 7F880280
	v_mov_b32_e32 v125, 0                                      // 000000002DFC: 7EFA0280
	v_mov_b32_e32 v197, 0                                      // 000000002E00: 7F8A0280
	v_mov_b32_e32 v126, 0                                      // 000000002E04: 7EFC0280
	v_mov_b32_e32 v198, 0                                      // 000000002E08: 7F8C0280
	v_mov_b32_e32 v127, 0                                      // 000000002E0C: 7EFE0280
	v_mov_b32_e32 v199, 0                                      // 000000002E10: 7F8E0280
	v_mov_b32_e32 v128, 0                                      // 000000002E14: 7F000280
	v_mov_b32_e32 v200, 0                                      // 000000002E18: 7F900280
	v_mov_b32_e32 v129, 0                                      // 000000002E1C: 7F020280
	v_mov_b32_e32 v201, 0                                      // 000000002E20: 7F920280
	v_mov_b32_e32 v130, 0                                      // 000000002E24: 7F040280
	v_mov_b32_e32 v202, 0                                      // 000000002E28: 7F940280
	v_mov_b32_e32 v131, 0                                      // 000000002E2C: 7F060280
	v_mov_b32_e32 v203, 0                                      // 000000002E30: 7F960280
	v_mov_b32_e32 v132, 0                                      // 000000002E34: 7F080280
	v_mov_b32_e32 v204, 0                                      // 000000002E38: 7F980280
	v_mov_b32_e32 v133, 0                                      // 000000002E3C: 7F0A0280
	v_mov_b32_e32 v205, 0                                      // 000000002E40: 7F9A0280
	v_mov_b32_e32 v134, 0                                      // 000000002E44: 7F0C0280
	v_mov_b32_e32 v206, 0                                      // 000000002E48: 7F9C0280
	v_mov_b32_e32 v135, 0                                      // 000000002E4C: 7F0E0280
	v_mov_b32_e32 v207, 0                                      // 000000002E50: 7F9E0280
	v_mov_b32_e32 v136, 0                                      // 000000002E54: 7F100280
	v_mov_b32_e32 v208, 0                                      // 000000002E58: 7FA00280
	v_mov_b32_e32 v137, 0                                      // 000000002E5C: 7F120280
	v_mov_b32_e32 v209, 0                                      // 000000002E60: 7FA20280
	v_mov_b32_e32 v138, 0                                      // 000000002E64: 7F140280
	v_mov_b32_e32 v210, 0                                      // 000000002E68: 7FA40280
	v_mov_b32_e32 v139, 0                                      // 000000002E6C: 7F160280
	v_mov_b32_e32 v211, 0                                      // 000000002E70: 7FA60280
	v_mov_b32_e32 v140, 0                                      // 000000002E74: 7F180280
	v_mov_b32_e32 v212, 0                                      // 000000002E78: 7FA80280
	v_mov_b32_e32 v141, 0                                      // 000000002E7C: 7F1A0280
	v_mov_b32_e32 v213, 0                                      // 000000002E80: 7FAA0280
	v_mov_b32_e32 v142, 0                                      // 000000002E84: 7F1C0280
	v_mov_b32_e32 v214, 0                                      // 000000002E88: 7FAC0280
	v_mov_b32_e32 v143, 0                                      // 000000002E8C: 7F1E0280
	v_mov_b32_e32 v215, 0                                      // 000000002E90: 7FAE0280
	v_mov_b32_e32 v144, 0                                      // 000000002E94: 7F200280
	v_mov_b32_e32 v216, 0                                      // 000000002E98: 7FB00280
	v_mov_b32_e32 v145, 0                                      // 000000002E9C: 7F220280
	v_mov_b32_e32 v217, 0                                      // 000000002EA0: 7FB20280
	v_mov_b32_e32 v146, 0                                      // 000000002EA4: 7F240280
	v_mov_b32_e32 v218, 0                                      // 000000002EA8: 7FB40280
	v_mov_b32_e32 v147, 0                                      // 000000002EAC: 7F260280
	v_mov_b32_e32 v219, 0                                      // 000000002EB0: 7FB60280
	v_mov_b32_e32 v148, 0                                      // 000000002EB4: 7F280280
	v_mov_b32_e32 v220, 0                                      // 000000002EB8: 7FB80280
	v_mov_b32_e32 v149, 0                                      // 000000002EBC: 7F2A0280
	v_mov_b32_e32 v221, 0                                      // 000000002EC0: 7FBA0280
	v_mov_b32_e32 v150, 0                                      // 000000002EC4: 7F2C0280
	v_mov_b32_e32 v222, 0                                      // 000000002EC8: 7FBC0280
	v_mov_b32_e32 v151, 0                                      // 000000002ECC: 7F2E0280
	v_mov_b32_e32 v223, 0                                      // 000000002ED0: 7FBE0280
	v_mov_b32_e32 v152, 0                                      // 000000002ED4: 7F300280
	v_mov_b32_e32 v224, 0                                      // 000000002ED8: 7FC00280
	v_mov_b32_e32 v153, 0                                      // 000000002EDC: 7F320280
	v_mov_b32_e32 v225, 0                                      // 000000002EE0: 7FC20280
	v_mov_b32_e32 v154, 0                                      // 000000002EE4: 7F340280
	v_mov_b32_e32 v226, 0                                      // 000000002EE8: 7FC40280
	v_mov_b32_e32 v155, 0                                      // 000000002EEC: 7F360280
	v_mov_b32_e32 v227, 0                                      // 000000002EF0: 7FC60280
	s_mul_i32 s60, s2, 0x100                                   // 000000002EF4: 923CFF02 00000100
	s_cmp_eq_u32 s88, 0                                        // 000000002EFC: BF068058
	s_cselect_b32 s61, 1, 2                                    // 000000002F00: 853D8281
	s_mul_i32 s60, s60, s61                                    // 000000002F04: 923C3D3C
	s_mov_b32 s90, s8                                          // 000000002F08: BEDA0008
	s_mov_b32 s91, s9                                          // 000000002F0C: BEDB0009
	s_add_u32 s8, s60, s8                                      // 000000002F10: 8008083C
	s_addc_u32 s9, 0, s9                                       // 000000002F14: 82090980
	v_lshrrev_b32_e32 v4, 4, v0                                // 000000002F18: 20080084
	v_mul_lo_u32 v20, 34, v4                                   // 000000002F1C: D2850014 000208A2
	v_and_b32_e32 v4, 15, v0                                   // 000000002F24: 2608008F
	v_mul_lo_u32 v5, 2, v4                                     // 000000002F28: D2850005 00020882
	v_add_u32_e32 v20, v5, v20                                 // 000000002F30: 68282905
	s_mul_i32 s60, s7, 0x88                                    // 000000002F34: 923CFF07 00000088
	v_add_u32_e32 v20, s60, v20                                // 000000002F3C: 6828283C
	v_lshlrev_b32_e32 v20, 2, v20                              // 000000002F40: 24282882
	v_and_b32_e32 v4, 31, v0                                   // 000000002F44: 2608009F
	v_lshrrev_b32_e32 v4, 1, v4                                // 000000002F48: 20080881
	v_mul_lo_u32 v21, 34, v4                                   // 000000002F4C: D2850015 000208A2
	v_lshrrev_b32_e32 v4, 5, v0                                // 000000002F54: 20080085
	v_mul_lo_u32 v4, 8, v4                                     // 000000002F58: D2850004 00020888
	v_add_u32_e32 v21, v21, v4                                 // 000000002F60: 682A0915
	v_and_b32_e32 v5, 1, v0                                    // 000000002F64: 260A0081
	v_add_u32_e32 v21, v5, v21                                 // 000000002F68: 682A2B05
	s_mul_i32 s60, s7, 2                                       // 000000002F6C: 923C8207
	v_add_u32_e32 v21, s60, v21                                // 000000002F70: 682A2A3C
	v_lshlrev_b32_e32 v21, 2, v21                              // 000000002F74: 242A2A82
	s_mul_i32 s60, s7, 0x1220                                  // 000000002F78: 923CFF07 00001220
	s_add_u32 s48, 0, s60                                      // 000000002F80: 80303C80
	s_add_u32 s49, 0x4880, s48                                 // 000000002F84: 803130FF 00004880
	v_lshrrev_b32_e32 v4, 4, v0                                // 000000002F8C: 20080084
	v_lshlrev_b32_e32 v5, 2, v4                                // 000000002F90: 240A0882
	v_and_b32_e32 v4, 15, v0                                   // 000000002F94: 2608008F
	v_lshrrev_b32_e32 v6, 2, v4                                // 000000002F98: 200C0882
	v_lshlrev_b32_e32 v6, 5, v6                                // 000000002F9C: 240C0C85
	v_add_u32_e32 v5, v6, v5                                   // 000000002FA0: 680A0B06
	v_and_b32_e32 v4, 3, v0                                    // 000000002FA4: 26080083
	v_mul_u32_u24_e32 v6, 0x488, v4                            // 000000002FA8: 100C08FF 00000488
	v_add_u32_e32 v5, v6, v5                                   // 000000002FB0: 680A0B06
	v_lshlrev_b32_e32 v2, 2, v5                                // 000000002FB4: 24040A82
	s_waitcnt lgkmcnt(0)                                       // 000000002FB8: BF8CC07F
	s_mul_i32 s60, s2, 0x80                                    // 000000002FBC: 923CFF02 00000080
	s_mul_i32 s60, s60, s69                                    // 000000002FC4: 923C453C
	s_mul_i32 s61, s5, s72                                     // 000000002FC8: 923D4805
	s_add_u32 s60, s61, s60                                    // 000000002FCC: 803C3C3D
	s_add_u32 s24, s60, s24                                    // 000000002FD0: 8018183C
	s_addc_u32 s25, 0, s25                                     // 000000002FD4: 82191980
	s_lshr_b32 s60, s64, s88                                   // 000000002FD8: 8F3C5840
	s_mul_i32 s60, s4, s60                                     // 000000002FDC: 923C3C04
	s_lshr_b32 s60, s60, 7                                     // 000000002FE0: 8F3C873C
	s_mul_i32 s60, s60, 0x800                                  // 000000002FE4: 923CFF3C 00000800
	s_add_u32 s24, s60, s24                                    // 000000002FEC: 8018183C
	s_addc_u32 s25, 0, s25                                     // 000000002FF0: 82191980
	s_lshr_b32 s60, s69, s88                                   // 000000002FF4: 8F3C5845
	s_mul_i32 s60, s4, s60                                     // 000000002FF8: 923C3C04
	s_add_u32 s20, s60, s20                                    // 000000002FFC: 8014143C
	s_addc_u32 s21, 0, s21                                     // 000000003000: 82151580
	s_mul_i32 s60, s7, 16                                      // 000000003004: 923C9007
	s_mul_i32 s60, s60, s69                                    // 000000003008: 923C453C
	v_lshlrev_b32_e32 v82, 4, v0                               // 00000000300C: 24A40084
	v_add_u32_e32 v82, s60, v82                                // 000000003010: 68A4A43C
	s_mul_i32 s60, 64, s69                                     // 000000003014: 923C45C0
	v_add_u32_e32 v83, s60, v82                                // 000000003018: 68A6A43C
	s_mov_b32 s84, s24                                         // 00000000301C: BED40018
	s_mov_b32 s85, s25                                         // 000000003020: BED50019
	s_mov_b32 s86, s26                                         // 000000003024: BED6001A
	s_mov_b32 s87, s27                                         // 000000003028: BED7001B
	s_mul_i32 s60, s69, s65                                    // 00000000302C: 923C4145
	s_add_u32 s84, s60, s84                                    // 000000003030: 8054543C
	s_addc_u32 s85, 0, s85                                     // 000000003034: 82555580
	v_lshrrev_b32_e32 v4, 4, v0                                // 000000003038: 20080084
	v_lshlrev_b32_e32 v5, 2, v4                                // 00000000303C: 240A0882
	v_and_b32_e32 v4, 15, v0                                   // 000000003040: 2608008F
	v_lshrrev_b32_e32 v6, 2, v4                                // 000000003044: 200C0882
	v_lshlrev_b32_e32 v6, 6, v6                                // 000000003048: 240C0C86
	v_add_u32_e32 v5, v6, v5                                   // 00000000304C: 680A0B06
	v_and_b32_e32 v4, 3, v0                                    // 000000003050: 26080083
	v_add_u32_e32 v5, v4, v5                                   // 000000003054: 680A0B04
	v_lshlrev_b32_e32 v22, 2, v5                               // 000000003058: 242C0A82
	s_mul_i32 s60, s7, 16                                      // 00000000305C: 923C9007
	s_mul_i32 s60, s60, 4                                      // 000000003060: 923C843C
	v_add_u32_e32 v22, s60, v22                                // 000000003064: 682C2C3C
	s_mul_i32 s60, s2, 0x80                                    // 000000003068: 923CFF02 00000080
	s_mul_i32 s60, s60, 4                                      // 000000003070: 923C843C
	s_mul_i32 s61, s5, s74                                     // 000000003074: 923D4A05
	s_add_u32 s61, s61, s60                                    // 000000003078: 803D3C3D
	s_add_u32 s32, s61, s32                                    // 00000000307C: 8020203D
	s_addc_u32 s33, 0, s33                                     // 000000003080: 82212180
	s_mov_b32 s57, 0x80                                        // 000000003084: BEB900FF 00000080
	s_mov_b32 s58, 0x800                                       // 00000000308C: BEBA00FF 00000800
	s_mov_b32 s83, s58                                         // 000000003094: BED3003A
	s_mov_b32 s52, 0x7060302                                   // 000000003098: BEB400FF 07060302
	s_mov_b32 s53, 0x400                                       // 0000000030A0: BEB500FF 00000400
	s_mov_b32 s54, 0x40100                                     // 0000000030A8: BEB600FF 00040100
	s_mov_b32 s55, 0x4020100                                   // 0000000030B0: BEB700FF 04020100
	s_mov_b32 s6, 0x3fb8aa3b                                   // 0000000030B8: BE8600FF 3FB8AA3B
	s_mov_b32 s78, 0xbd92220c                                  // 0000000030C0: BECE00FF BD92220C
	s_mov_b32 s79, 0xbd92220c                                  // 0000000030C8: BECF00FF BD92220C
	s_mov_b32 m0, s48                                          // 0000000030D0: BEFC0030
	v_mov_b32_e32 v1, 0xbfcc4231                               // 0000000030D4: 7E0202FF BFCC4231
	v_mov_b32_e32 v17, 0xffff0000                              // 0000000030DC: 7E2202FF FFFF0000
	v_mov_b32_e32 v18, 0x7fff0000                              // 0000000030E4: 7E2402FF 7FFF0000
	v_mov_b32_e32 v19, 0x7fff                                  // 0000000030EC: 7E2602FF 00007FFF
	s_waitcnt vmcnt(0) expcnt(0) lgkmcnt(0)                    // 0000000030F4: BF8C0000
	v_lshrrev_b32_e32 v4, 5, v0                                // 0000000030F8: 20080085
	v_xor_b32_e32 v5, 1, v4                                    // 0000000030FC: 2A0A0881
	v_readlane_b32 s82, v3, 0                                  // 000000003100: D2890052 00010103
	s_and_b32 s82, s82, 0xffffff                               // 000000003108: 8652FF52 00FFFFFF
	v_mul_lo_u32 v6, v5, s82                                   // 000000003110: D2850006 0000A505
	v_readlane_b32 s82, v3, 1                                  // 000000003118: D2890052 00010303
	s_and_b32 s82, s82, 0xffffff                               // 000000003120: 8652FF52 00FFFFFF
	v_mul_lo_u32 v7, v4, s82                                   // 000000003128: D2850007 0000A504
	v_add_u32_e32 v64, v6, v7                                  // 000000003130: 68800F06
	v_mul_lo_u32 v64, v64, s68                                 // 000000003134: D2850040 00008940
	v_readlane_b32 s82, v3, 2                                  // 00000000313C: D2890052 00010503
	s_and_b32 s82, s82, 0xffffff                               // 000000003144: 8652FF52 00FFFFFF
	v_mul_lo_u32 v6, v5, s82                                   // 00000000314C: D2850006 0000A505
	v_readlane_b32 s82, v3, 3                                  // 000000003154: D2890052 00010703
	s_and_b32 s82, s82, 0xffffff                               // 00000000315C: 8652FF52 00FFFFFF
	v_mul_lo_u32 v7, v4, s82                                   // 000000003164: D2850007 0000A504
	v_add_u32_e32 v65, v6, v7                                  // 00000000316C: 68820F06
	v_mul_lo_u32 v65, v65, s68                                 // 000000003170: D2850041 00008941
	v_readlane_b32 s82, v3, 4                                  // 000000003178: D2890052 00010903
	s_and_b32 s82, s82, 0xffffff                               // 000000003180: 8652FF52 00FFFFFF
	v_mul_lo_u32 v6, v5, s82                                   // 000000003188: D2850006 0000A505
	v_readlane_b32 s82, v3, 5                                  // 000000003190: D2890052 00010B03
	s_and_b32 s82, s82, 0xffffff                               // 000000003198: 8652FF52 00FFFFFF
	v_mul_lo_u32 v7, v4, s82                                   // 0000000031A0: D2850007 0000A504
	v_add_u32_e32 v66, v6, v7                                  // 0000000031A8: 68840F06
	v_mul_lo_u32 v66, v66, s68                                 // 0000000031AC: D2850042 00008942
	v_readlane_b32 s82, v3, 6                                  // 0000000031B4: D2890052 00010D03
	s_and_b32 s82, s82, 0xffffff                               // 0000000031BC: 8652FF52 00FFFFFF
	v_mul_lo_u32 v6, v5, s82                                   // 0000000031C4: D2850006 0000A505
	v_readlane_b32 s82, v3, 7                                  // 0000000031CC: D2890052 00010F03
	s_and_b32 s82, s82, 0xffffff                               // 0000000031D4: 8652FF52 00FFFFFF
	v_mul_lo_u32 v7, v4, s82                                   // 0000000031DC: D2850007 0000A504
	v_add_u32_e32 v67, v6, v7                                  // 0000000031E4: 68860F06
	v_mul_lo_u32 v67, v67, s68                                 // 0000000031E8: D2850043 00008943
	v_readlane_b32 s82, v3, 8                                  // 0000000031F0: D2890052 00011103
	s_and_b32 s82, s82, 0xffffff                               // 0000000031F8: 8652FF52 00FFFFFF
	v_mul_lo_u32 v6, v5, s82                                   // 000000003200: D2850006 0000A505
	v_readlane_b32 s82, v3, 9                                  // 000000003208: D2890052 00011303
	s_and_b32 s82, s82, 0xffffff                               // 000000003210: 8652FF52 00FFFFFF
	v_mul_lo_u32 v7, v4, s82                                   // 000000003218: D2850007 0000A504
	v_add_u32_e32 v68, v6, v7                                  // 000000003220: 68880F06
	v_mul_lo_u32 v68, v68, s68                                 // 000000003224: D2850044 00008944
	v_readlane_b32 s82, v3, 10                                 // 00000000322C: D2890052 00011503
	s_and_b32 s82, s82, 0xffffff                               // 000000003234: 8652FF52 00FFFFFF
	v_mul_lo_u32 v6, v5, s82                                   // 00000000323C: D2850006 0000A505
	v_readlane_b32 s82, v3, 11                                 // 000000003244: D2890052 00011703
	s_and_b32 s82, s82, 0xffffff                               // 00000000324C: 8652FF52 00FFFFFF
	v_mul_lo_u32 v7, v4, s82                                   // 000000003254: D2850007 0000A504
	v_add_u32_e32 v69, v6, v7                                  // 00000000325C: 688A0F06
	v_mul_lo_u32 v69, v69, s68                                 // 000000003260: D2850045 00008945
	v_readlane_b32 s82, v3, 12                                 // 000000003268: D2890052 00011903
	s_and_b32 s82, s82, 0xffffff                               // 000000003270: 8652FF52 00FFFFFF
	v_mul_lo_u32 v6, v5, s82                                   // 000000003278: D2850006 0000A505
	v_readlane_b32 s82, v3, 13                                 // 000000003280: D2890052 00011B03
	s_and_b32 s82, s82, 0xffffff                               // 000000003288: 8652FF52 00FFFFFF
	v_mul_lo_u32 v7, v4, s82                                   // 000000003290: D2850007 0000A504
	v_add_u32_e32 v70, v6, v7                                  // 000000003298: 688C0F06
	v_mul_lo_u32 v70, v70, s68                                 // 00000000329C: D2850046 00008946
	v_readlane_b32 s82, v3, 14                                 // 0000000032A4: D2890052 00011D03
	s_and_b32 s82, s82, 0xffffff                               // 0000000032AC: 8652FF52 00FFFFFF
	v_mul_lo_u32 v6, v5, s82                                   // 0000000032B4: D2850006 0000A505
	v_readlane_b32 s82, v3, 15                                 // 0000000032BC: D2890052 00011F03
	s_and_b32 s82, s82, 0xffffff                               // 0000000032C4: 8652FF52 00FFFFFF
	v_mul_lo_u32 v7, v4, s82                                   // 0000000032CC: D2850007 0000A504
	v_add_u32_e32 v71, v6, v7                                  // 0000000032D4: 688E0F06
	v_mul_lo_u32 v71, v71, s68                                 // 0000000032D8: D2850047 00008947
	v_readlane_b32 s82, v3, 16                                 // 0000000032E0: D2890052 00012103
	s_and_b32 s82, s82, 0xffffff                               // 0000000032E8: 8652FF52 00FFFFFF
	v_mul_lo_u32 v6, v5, s82                                   // 0000000032F0: D2850006 0000A505
	v_readlane_b32 s82, v3, 17                                 // 0000000032F8: D2890052 00012303
	s_and_b32 s82, s82, 0xffffff                               // 000000003300: 8652FF52 00FFFFFF
	v_mul_lo_u32 v7, v4, s82                                   // 000000003308: D2850007 0000A504
	v_add_u32_e32 v72, v6, v7                                  // 000000003310: 68900F06
	v_mul_lo_u32 v72, v72, s68                                 // 000000003314: D2850048 00008948
	v_readlane_b32 s82, v3, 18                                 // 00000000331C: D2890052 00012503
	s_and_b32 s82, s82, 0xffffff                               // 000000003324: 8652FF52 00FFFFFF
	v_mul_lo_u32 v6, v5, s82                                   // 00000000332C: D2850006 0000A505
	v_readlane_b32 s82, v3, 19                                 // 000000003334: D2890052 00012703
	s_and_b32 s82, s82, 0xffffff                               // 00000000333C: 8652FF52 00FFFFFF
	v_mul_lo_u32 v7, v4, s82                                   // 000000003344: D2850007 0000A504
	v_add_u32_e32 v73, v6, v7                                  // 00000000334C: 68920F06
	v_mul_lo_u32 v73, v73, s68                                 // 000000003350: D2850049 00008949
	v_readlane_b32 s82, v3, 20                                 // 000000003358: D2890052 00012903
	s_and_b32 s82, s82, 0xffffff                               // 000000003360: 8652FF52 00FFFFFF
	v_mul_lo_u32 v6, v5, s82                                   // 000000003368: D2850006 0000A505
	v_readlane_b32 s82, v3, 21                                 // 000000003370: D2890052 00012B03
	s_and_b32 s82, s82, 0xffffff                               // 000000003378: 8652FF52 00FFFFFF
	v_mul_lo_u32 v7, v4, s82                                   // 000000003380: D2850007 0000A504
	v_add_u32_e32 v74, v6, v7                                  // 000000003388: 68940F06
	v_mul_lo_u32 v74, v74, s68                                 // 00000000338C: D285004A 0000894A
	v_readlane_b32 s82, v3, 22                                 // 000000003394: D2890052 00012D03
	s_and_b32 s82, s82, 0xffffff                               // 00000000339C: 8652FF52 00FFFFFF
	v_mul_lo_u32 v6, v5, s82                                   // 0000000033A4: D2850006 0000A505
	v_readlane_b32 s82, v3, 23                                 // 0000000033AC: D2890052 00012F03
	s_and_b32 s82, s82, 0xffffff                               // 0000000033B4: 8652FF52 00FFFFFF
	v_mul_lo_u32 v7, v4, s82                                   // 0000000033BC: D2850007 0000A504
	v_add_u32_e32 v75, v6, v7                                  // 0000000033C4: 68960F06
	v_mul_lo_u32 v75, v75, s68                                 // 0000000033C8: D285004B 0000894B
	v_readlane_b32 s82, v3, 24                                 // 0000000033D0: D2890052 00013103
	s_and_b32 s82, s82, 0xffffff                               // 0000000033D8: 8652FF52 00FFFFFF
	v_mul_lo_u32 v6, v5, s82                                   // 0000000033E0: D2850006 0000A505
	v_readlane_b32 s82, v3, 25                                 // 0000000033E8: D2890052 00013303
	s_and_b32 s82, s82, 0xffffff                               // 0000000033F0: 8652FF52 00FFFFFF
	v_mul_lo_u32 v7, v4, s82                                   // 0000000033F8: D2850007 0000A504
	v_add_u32_e32 v76, v6, v7                                  // 000000003400: 68980F06
	v_mul_lo_u32 v76, v76, s68                                 // 000000003404: D285004C 0000894C
	v_readlane_b32 s82, v3, 26                                 // 00000000340C: D2890052 00013503
	s_and_b32 s82, s82, 0xffffff                               // 000000003414: 8652FF52 00FFFFFF
	v_mul_lo_u32 v6, v5, s82                                   // 00000000341C: D2850006 0000A505
	v_readlane_b32 s82, v3, 27                                 // 000000003424: D2890052 00013703
	s_and_b32 s82, s82, 0xffffff                               // 00000000342C: 8652FF52 00FFFFFF
	v_mul_lo_u32 v7, v4, s82                                   // 000000003434: D2850007 0000A504
	v_add_u32_e32 v77, v6, v7                                  // 00000000343C: 689A0F06
	v_mul_lo_u32 v77, v77, s68                                 // 000000003440: D285004D 0000894D
	v_readlane_b32 s82, v3, 28                                 // 000000003448: D2890052 00013903
	s_and_b32 s82, s82, 0xffffff                               // 000000003450: 8652FF52 00FFFFFF
	v_mul_lo_u32 v6, v5, s82                                   // 000000003458: D2850006 0000A505
	v_readlane_b32 s82, v3, 29                                 // 000000003460: D2890052 00013B03
	s_and_b32 s82, s82, 0xffffff                               // 000000003468: 8652FF52 00FFFFFF
	v_mul_lo_u32 v7, v4, s82                                   // 000000003470: D2850007 0000A504
	v_add_u32_e32 v78, v6, v7                                  // 000000003478: 689C0F06
	v_mul_lo_u32 v78, v78, s68                                 // 00000000347C: D285004E 0000894E
	v_readlane_b32 s82, v3, 30                                 // 000000003484: D2890052 00013D03
	s_and_b32 s82, s82, 0xffffff                               // 00000000348C: 8652FF52 00FFFFFF
	v_mul_lo_u32 v6, v5, s82                                   // 000000003494: D2850006 0000A505
	v_readlane_b32 s82, v3, 31                                 // 00000000349C: D2890052 00013F03
	s_and_b32 s82, s82, 0xffffff                               // 0000000034A4: 8652FF52 00FFFFFF
	v_mul_lo_u32 v7, v4, s82                                   // 0000000034AC: D2850007 0000A504
	v_add_u32_e32 v79, v6, v7                                  // 0000000034B4: 689E0F06
	v_mul_lo_u32 v79, v79, s68                                 // 0000000034B8: D285004F 0000894F
	v_readlane_b32 s82, v3, 32                                 // 0000000034C0: D2890052 00014103
	s_and_b32 s82, s82, 0xffffff                               // 0000000034C8: 8652FF52 00FFFFFF
	v_mul_lo_u32 v6, v5, s82                                   // 0000000034D0: D2850006 0000A505
	v_readlane_b32 s82, v3, 33                                 // 0000000034D8: D2890052 00014303
	s_and_b32 s82, s82, 0xffffff                               // 0000000034E0: 8652FF52 00FFFFFF
	v_mul_lo_u32 v7, v4, s82                                   // 0000000034E8: D2850007 0000A504
	v_add_u32_e32 v80, v6, v7                                  // 0000000034F0: 68A00F06
	v_mul_lo_u32 v80, v80, s68                                 // 0000000034F4: D2850050 00008950
	v_readlane_b32 s82, v3, 34                                 // 0000000034FC: D2890052 00014503
	s_and_b32 s82, s82, 0xffffff                               // 000000003504: 8652FF52 00FFFFFF
	v_mul_lo_u32 v6, v5, s82                                   // 00000000350C: D2850006 0000A505
	v_readlane_b32 s82, v3, 35                                 // 000000003514: D2890052 00014703
	s_and_b32 s82, s82, 0xffffff                               // 00000000351C: 8652FF52 00FFFFFF
	v_mul_lo_u32 v7, v4, s82                                   // 000000003524: D2850007 0000A504
	v_add_u32_e32 v81, v6, v7                                  // 00000000352C: 68A20F06
	v_mul_lo_u32 v81, v81, s68                                 // 000000003530: D2850051 00008951
	v_and_b32_e32 v4, 31, v0                                   // 000000003538: 2608009F
	v_lshlrev_b32_e32 v4, 2, v4                                // 00000000353C: 24080882
	v_add_u32_e32 v64, v64, v4                                 // 000000003540: 68800940
	v_add_u32_e32 v65, v65, v4                                 // 000000003544: 68820941
	;; [unrolled: 1-line block ×3, first 2 shown]
	v_add_u32_e32 v67, v67, v4                                 // 00000000354C: 68860943
	v_add_u32_e32 v68, v68, v4                                 // 000000003550: 68880944
	v_add_u32_e32 v69, v69, v4                                 // 000000003554: 688A0945
	v_add_u32_e32 v70, v70, v4                                 // 000000003558: 688C0946
	v_add_u32_e32 v71, v71, v4                                 // 00000000355C: 688E0947
	v_add_u32_e32 v72, v72, v4                                 // 000000003560: 68900948
	v_add_u32_e32 v73, v73, v4                                 // 000000003564: 68920949
	v_add_u32_e32 v74, v74, v4                                 // 000000003568: 6894094A
	v_add_u32_e32 v75, v75, v4                                 // 00000000356C: 6896094B
	v_add_u32_e32 v76, v76, v4                                 // 000000003570: 6898094C
	v_add_u32_e32 v77, v77, v4                                 // 000000003574: 689A094D
	v_add_u32_e32 v78, v78, v4                                 // 000000003578: 689C094E
	v_add_u32_e32 v79, v79, v4                                 // 00000000357C: 689E094F
	v_add_u32_e32 v80, v80, v4                                 // 000000003580: 68A00950
	v_add_u32_e32 v81, v81, v4                                 // 000000003584: 68A20951
	v_and_b32_e32 v28, 0xffffff, v28                           // 000000003588: 263838FF 00FFFFFF
	v_lshlrev_b32_e32 v28, 2, v28                              // 000000003590: 24383882
	v_and_b32_e32 v29, 0xffffff, v29                           // 000000003594: 263A3AFF 00FFFFFF
	v_lshlrev_b32_e32 v29, 2, v29                              // 00000000359C: 243A3A82
	v_and_b32_e32 v30, 0xffffff, v30                           // 0000000035A0: 263C3CFF 00FFFFFF
	v_lshlrev_b32_e32 v30, 2, v30                              // 0000000035A8: 243C3C82
	v_and_b32_e32 v31, 0xffffff, v31                           // 0000000035AC: 263E3EFF 00FFFFFF
	v_lshlrev_b32_e32 v31, 2, v31                              // 0000000035B4: 243E3E82
	v_and_b32_e32 v32, 0xffffff, v32                           // 0000000035B8: 264040FF 00FFFFFF
	v_lshlrev_b32_e32 v32, 2, v32                              // 0000000035C0: 24404082
	v_and_b32_e32 v33, 0xffffff, v33                           // 0000000035C4: 264242FF 00FFFFFF
	v_lshlrev_b32_e32 v33, 2, v33                              // 0000000035CC: 24424282
	v_and_b32_e32 v34, 0xffffff, v34                           // 0000000035D0: 264444FF 00FFFFFF
	v_lshlrev_b32_e32 v34, 2, v34                              // 0000000035D8: 24444482
	v_and_b32_e32 v35, 0xffffff, v35                           // 0000000035DC: 264646FF 00FFFFFF
	v_lshlrev_b32_e32 v35, 2, v35                              // 0000000035E4: 24464682
	v_and_b32_e32 v36, 0xffffff, v36                           // 0000000035E8: 264848FF 00FFFFFF
	v_lshlrev_b32_e32 v36, 2, v36                              // 0000000035F0: 24484882
	s_lshl_b32 s3, s66, 2                                      // 0000000035F4: 8E038242
	buffer_load_dword v37, v28, s[28:31], 0 offen              // 0000000035F8: E0501000 8007251C
	buffer_load_dword v38, v29, s[28:31], 0 offen              // 000000003600: E0501000 8007261D
	buffer_load_dword v39, v30, s[28:31], 0 offen              // 000000003608: E0501000 8007271E
	buffer_load_dword v40, v31, s[28:31], 0 offen              // 000000003610: E0501000 8007281F
	buffer_load_dword v41, v32, s[28:31], 0 offen              // 000000003618: E0501000 80072920
	buffer_load_dword v42, v33, s[28:31], 0 offen              // 000000003620: E0501000 80072A21
	buffer_load_dword v43, v34, s[28:31], 0 offen              // 000000003628: E0501000 80072B22
	buffer_load_dword v44, v35, s[28:31], 0 offen              // 000000003630: E0501000 80072C23
	buffer_load_dword v45, v36, s[28:31], 0 offen              // 000000003638: E0501000 80072D24
	buffer_load_dword v24, v22, s[32:35], 0 offen              // 000000003640: E0501000 80081816
	s_mul_i32 s60, 4, s65                                      // 000000003648: 923C4184
	s_add_u32 s32, s60, s32                                    // 00000000364C: 8020203C
	s_addc_u32 s33, 0, s33                                     // 000000003650: 82212180
	buffer_load_dword v26, v22, s[32:35], 0 offen              // 000000003654: E0501000 80081A16
	buffer_load_dword v64, s[20:23], 0 offen lds               // 00000000365C: E0511000 80050040
	s_add_u32 m0, 0x100, s48                                   // 000000003664: 807C30FF 00000100
	buffer_load_dword v65, s[20:23], 0 offen lds               // 00000000366C: E0511000 80050041
	s_add_u32 m0, 0x200, s48                                   // 000000003674: 807C30FF 00000200
	buffer_load_dword v66, s[20:23], 0 offen lds               // 00000000367C: E0511000 80050042
	s_add_u32 m0, 0x300, s48                                   // 000000003684: 807C30FF 00000300
	buffer_load_dword v67, s[20:23], 0 offen lds               // 00000000368C: E0511000 80050043
	s_add_u32 m0, 0x400, s48                                   // 000000003694: 807C30FF 00000400
	buffer_load_dword v68, s[20:23], 0 offen lds               // 00000000369C: E0511000 80050044
	s_add_u32 m0, 0x500, s48                                   // 0000000036A4: 807C30FF 00000500
	buffer_load_dword v69, s[20:23], 0 offen lds               // 0000000036AC: E0511000 80050045
	s_add_u32 m0, 0x600, s48                                   // 0000000036B4: 807C30FF 00000600
	buffer_load_dword v70, s[20:23], 0 offen lds               // 0000000036BC: E0511000 80050046
	s_add_u32 m0, 0x700, s48                                   // 0000000036C4: 807C30FF 00000700
	buffer_load_dword v71, s[20:23], 0 offen lds               // 0000000036CC: E0511000 80050047
	s_add_u32 m0, 0x800, s48                                   // 0000000036D4: 807C30FF 00000800
	buffer_load_dword v72, s[20:23], 0 offen lds               // 0000000036DC: E0511000 80050048
	s_add_u32 m0, 0x900, s48                                   // 0000000036E4: 807C30FF 00000900
	buffer_load_dword v73, s[20:23], 0 offen lds               // 0000000036EC: E0511000 80050049
	s_add_u32 m0, 0xa00, s48                                   // 0000000036F4: 807C30FF 00000A00
	buffer_load_dword v74, s[20:23], 0 offen lds               // 0000000036FC: E0511000 8005004A
	s_add_u32 m0, 0xb00, s48                                   // 000000003704: 807C30FF 00000B00
	buffer_load_dword v75, s[20:23], 0 offen lds               // 00000000370C: E0511000 8005004B
	s_add_u32 m0, 0xc00, s48                                   // 000000003714: 807C30FF 00000C00
	buffer_load_dword v76, s[20:23], 0 offen lds               // 00000000371C: E0511000 8005004C
	s_add_u32 m0, 0xd00, s48                                   // 000000003724: 807C30FF 00000D00
	buffer_load_dword v77, s[20:23], 0 offen lds               // 00000000372C: E0511000 8005004D
	s_add_u32 m0, 0xe00, s48                                   // 000000003734: 807C30FF 00000E00
	buffer_load_dword v78, s[20:23], 0 offen lds               // 00000000373C: E0511000 8005004E
	s_add_u32 m0, 0xf00, s48                                   // 000000003744: 807C30FF 00000F00
	buffer_load_dword v79, s[20:23], 0 offen lds               // 00000000374C: E0511000 8005004F
	s_add_u32 m0, 0x1000, s48                                  // 000000003754: 807C30FF 00001000
	buffer_load_dword v80, s[20:23], 0 offen lds               // 00000000375C: E0511000 80050050
	s_add_u32 m0, 0x1100, s48                                  // 000000003764: 807C30FF 00001100
	buffer_load_dword v81, s[20:23], 0 offen lds               // 00000000376C: E0511000 80050051
	s_add_u32 m0, 0, s49                                       // 000000003774: 807C3180
	s_add_u32 s20, s57, s20                                    // 000000003778: 80141439
	s_addc_u32 s21, 0, s21                                     // 00000000377C: 82151580
	buffer_load_dword v64, s[20:23], 0 offen lds               // 000000003780: E0511000 80050040
	s_add_u32 m0, 0x100, s49                                   // 000000003788: 807C31FF 00000100
	buffer_load_dword v65, s[20:23], 0 offen lds               // 000000003790: E0511000 80050041
	s_add_u32 m0, 0x200, s49                                   // 000000003798: 807C31FF 00000200
	buffer_load_dword v66, s[20:23], 0 offen lds               // 0000000037A0: E0511000 80050042
	s_add_u32 m0, 0x300, s49                                   // 0000000037A8: 807C31FF 00000300
	buffer_load_dword v67, s[20:23], 0 offen lds               // 0000000037B0: E0511000 80050043
	s_add_u32 m0, 0x400, s49                                   // 0000000037B8: 807C31FF 00000400
	buffer_load_dword v68, s[20:23], 0 offen lds               // 0000000037C0: E0511000 80050044
	s_add_u32 m0, 0x500, s49                                   // 0000000037C8: 807C31FF 00000500
	buffer_load_dword v69, s[20:23], 0 offen lds               // 0000000037D0: E0511000 80050045
	s_add_u32 m0, 0x600, s49                                   // 0000000037D8: 807C31FF 00000600
	buffer_load_dword v70, s[20:23], 0 offen lds               // 0000000037E0: E0511000 80050046
	s_add_u32 m0, 0x700, s49                                   // 0000000037E8: 807C31FF 00000700
	buffer_load_dword v71, s[20:23], 0 offen lds               // 0000000037F0: E0511000 80050047
	s_add_u32 m0, 0x800, s49                                   // 0000000037F8: 807C31FF 00000800
	buffer_load_dword v72, s[20:23], 0 offen lds               // 000000003800: E0511000 80050048
	s_add_u32 m0, 0x900, s49                                   // 000000003808: 807C31FF 00000900
	buffer_load_dword v73, s[20:23], 0 offen lds               // 000000003810: E0511000 80050049
	s_add_u32 m0, 0xa00, s49                                   // 000000003818: 807C31FF 00000A00
	buffer_load_dword v74, s[20:23], 0 offen lds               // 000000003820: E0511000 8005004A
	s_add_u32 m0, 0xb00, s49                                   // 000000003828: 807C31FF 00000B00
	buffer_load_dword v75, s[20:23], 0 offen lds               // 000000003830: E0511000 8005004B
	s_add_u32 m0, 0xc00, s49                                   // 000000003838: 807C31FF 00000C00
	buffer_load_dword v76, s[20:23], 0 offen lds               // 000000003840: E0511000 8005004C
	s_add_u32 m0, 0xd00, s49                                   // 000000003848: 807C31FF 00000D00
	buffer_load_dword v77, s[20:23], 0 offen lds               // 000000003850: E0511000 8005004D
	s_add_u32 m0, 0xe00, s49                                   // 000000003858: 807C31FF 00000E00
	buffer_load_dword v78, s[20:23], 0 offen lds               // 000000003860: E0511000 8005004E
	s_add_u32 m0, 0xf00, s49                                   // 000000003868: 807C31FF 00000F00
	buffer_load_dword v79, s[20:23], 0 offen lds               // 000000003870: E0511000 8005004F
	s_add_u32 m0, 0x1000, s49                                  // 000000003878: 807C31FF 00001000
	buffer_load_dword v80, s[20:23], 0 offen lds               // 000000003880: E0511000 80050050
	s_add_u32 m0, 0x1100, s49                                  // 000000003888: 807C31FF 00001100
	buffer_load_dword v81, s[20:23], 0 offen lds               // 000000003890: E0511000 80050051
	s_add_u32 m0, 0, s48                                       // 000000003898: 807C3080
	s_add_u32 s20, s57, s20                                    // 00000000389C: 80141439
	s_addc_u32 s21, 0, s21                                     // 0000000038A0: 82151580
	buffer_load_dwordx4 a[144:147], v82, s[24:27], 0 offen     // 0000000038A4: E05C1000 80869052
	buffer_load_dwordx4 a[148:151], v82, s[24:27], 0 offen offset:1024// 0000000038AC: E05C1400 80869452
	buffer_load_dwordx4 a[152:155], v83, s[24:27], 0 offen     // 0000000038B4: E05C1000 80869853
	buffer_load_dwordx4 a[156:159], v83, s[24:27], 0 offen offset:1024// 0000000038BC: E05C1400 80869C53
	s_add_u32 s24, s58, s24                                    // 0000000038C4: 8018183A
	s_addc_u32 s25, 0, s25                                     // 0000000038C8: 82191980
	s_waitcnt vmcnt(22)                                        // 0000000038CC: BF8C4F76
	s_barrier                                                  // 0000000038D0: BF8A0000
	ds_read_b128 a[0:3], v2                                    // 0000000038D4: DBFE0000 00000002
	ds_read_b128 a[4:7], v2 offset:64                          // 0000000038DC: DBFE0040 04000002
	ds_read_b128 a[8:11], v2 offset:512                        // 0000000038E4: DBFE0200 08000002
	ds_read_b128 a[12:15], v2 offset:576                       // 0000000038EC: DBFE0240 0C000002
	ds_read_b128 a[16:19], v2 offset:1024                      // 0000000038F4: DBFE0400 10000002
	ds_read_b128 a[20:23], v2 offset:1088                      // 0000000038FC: DBFE0440 14000002
	ds_read_b128 a[24:27], v2 offset:1536                      // 000000003904: DBFE0600 18000002
	ds_read_b128 a[28:31], v2 offset:1600                      // 00000000390C: DBFE0640 1C000002
	ds_read_b128 a[32:35], v2 offset:2048                      // 000000003914: DBFE0800 20000002
	ds_read_b128 a[36:39], v2 offset:2112                      // 00000000391C: DBFE0840 24000002
	ds_read_b128 a[40:43], v2 offset:2560                      // 000000003924: DBFE0A00 28000002
	ds_read_b128 a[44:47], v2 offset:2624                      // 00000000392C: DBFE0A40 2C000002
	ds_read_b128 a[48:51], v2 offset:3072                      // 000000003934: DBFE0C00 30000002
	ds_read_b128 a[52:55], v2 offset:3136                      // 00000000393C: DBFE0C40 34000002
	ds_read_b128 a[56:59], v2 offset:3584                      // 000000003944: DBFE0E00 38000002
	ds_read_b128 a[60:63], v2 offset:3648                      // 00000000394C: DBFE0E40 3C000002
	ds_read_b128 a[64:67], v2 offset:4096                      // 000000003954: DBFE1000 40000002
	ds_read_b128 a[68:71], v2 offset:4160                      // 00000000395C: DBFE1040 44000002
	s_cmp_lt_i32 s7, 2                                         // 000000003964: BF048207
	s_cbranch_scc0 label_1D2A                                  // 000000003968: BF84194C

000000000000396c <label_03DB>:
	s_waitcnt vmcnt(2) lgkmcnt(0)                              // 00000000396C: BF8C0072
	s_barrier                                                  // 000000003970: BF8A0000
	v_mfma_i32_16x16x32_i8 v[84:87], a[144:145], a[0:1], v[84:87]// 000000003974: D3D70054 1D520190
	v_mfma_i32_16x16x32_i8 v[84:87], a[146:147], a[2:3], v[84:87]// 00000000397C: D3D70054 1D520592
	buffer_load_dwordx4 a[160:163], v82, s[84:87], 0 offen     // 000000003984: E05C1000 8095A052
	v_mfma_i32_16x16x32_i8 v[84:87], a[148:149], a[4:5], v[84:87]// 00000000398C: D3D70054 1D520994
	v_mfma_i32_16x16x32_i8 v[84:87], a[150:151], a[6:7], v[84:87]// 000000003994: D3D70054 1D520D96
	v_mfma_i32_16x16x32_i8 v[88:91], a[144:145], a[8:9], v[88:91]// 00000000399C: D3D70058 1D621190
	v_mfma_i32_16x16x32_i8 v[88:91], a[146:147], a[10:11], v[88:91]// 0000000039A4: D3D70058 1D621592
	buffer_load_dwordx4 a[164:167], v82, s[84:87], 0 offen offset:1024// 0000000039AC: E05C1400 8095A452
	v_mfma_i32_16x16x32_i8 v[88:91], a[148:149], a[12:13], v[88:91]// 0000000039B4: D3D70058 1D621994
	v_mfma_i32_16x16x32_i8 v[88:91], a[150:151], a[14:15], v[88:91]// 0000000039BC: D3D70058 1D621D96
	v_mfma_i32_16x16x32_i8 v[92:95], a[144:145], a[16:17], v[92:95]// 0000000039C4: D3D7005C 1D722190
	v_mfma_i32_16x16x32_i8 v[92:95], a[146:147], a[18:19], v[92:95]// 0000000039CC: D3D7005C 1D722592
	buffer_load_dwordx4 a[168:171], v83, s[84:87], 0 offen     // 0000000039D4: E05C1000 8095A853
	v_mfma_i32_16x16x32_i8 v[92:95], a[148:149], a[20:21], v[92:95]// 0000000039DC: D3D7005C 1D722994
	v_mfma_i32_16x16x32_i8 v[92:95], a[150:151], a[22:23], v[92:95]// 0000000039E4: D3D7005C 1D722D96
	v_mfma_i32_16x16x32_i8 v[96:99], a[144:145], a[24:25], v[96:99]// 0000000039EC: D3D70060 1D823190
	v_mfma_i32_16x16x32_i8 v[96:99], a[146:147], a[26:27], v[96:99]// 0000000039F4: D3D70060 1D823592
	buffer_load_dwordx4 a[172:175], v83, s[84:87], 0 offen offset:1024// 0000000039FC: E05C1400 8095AC53
	buffer_load_dword v64, s[20:23], 0 offen lds               // 000000003A04: E0511000 80050040
	s_add_u32 m0, 0x100, s48                                   // 000000003A0C: 807C30FF 00000100
	v_mfma_i32_16x16x32_i8 v[96:99], a[148:149], a[28:29], v[96:99]// 000000003A14: D3D70060 1D823994
	v_mfma_i32_16x16x32_i8 v[96:99], a[150:151], a[30:31], v[96:99]// 000000003A1C: D3D70060 1D823D96
	buffer_load_dword v65, s[20:23], 0 offen lds               // 000000003A24: E0511000 80050041
	s_add_u32 m0, 0x200, s48                                   // 000000003A2C: 807C30FF 00000200
	v_mfma_i32_16x16x32_i8 v[100:103], a[144:145], a[32:33], v[100:103]// 000000003A34: D3D70064 1D924190
	v_mfma_i32_16x16x32_i8 v[100:103], a[146:147], a[34:35], v[100:103]// 000000003A3C: D3D70064 1D924592
	buffer_load_dword v66, s[20:23], 0 offen lds               // 000000003A44: E0511000 80050042
	s_add_u32 m0, 0x300, s48                                   // 000000003A4C: 807C30FF 00000300
	v_mfma_i32_16x16x32_i8 v[100:103], a[148:149], a[36:37], v[100:103]// 000000003A54: D3D70064 1D924994
	v_mfma_i32_16x16x32_i8 v[100:103], a[150:151], a[38:39], v[100:103]// 000000003A5C: D3D70064 1D924D96
	buffer_load_dword v67, s[20:23], 0 offen lds               // 000000003A64: E0511000 80050043
	s_add_u32 m0, 0x400, s48                                   // 000000003A6C: 807C30FF 00000400
	v_mfma_i32_16x16x32_i8 v[104:107], a[144:145], a[40:41], v[104:107]// 000000003A74: D3D70068 1DA25190
	v_mfma_i32_16x16x32_i8 v[104:107], a[146:147], a[42:43], v[104:107]// 000000003A7C: D3D70068 1DA25592
	buffer_load_dword v68, s[20:23], 0 offen lds               // 000000003A84: E0511000 80050044
	s_add_u32 m0, 0x500, s48                                   // 000000003A8C: 807C30FF 00000500
	v_mfma_i32_16x16x32_i8 v[104:107], a[148:149], a[44:45], v[104:107]// 000000003A94: D3D70068 1DA25994
	v_mfma_i32_16x16x32_i8 v[104:107], a[150:151], a[46:47], v[104:107]// 000000003A9C: D3D70068 1DA25D96
	buffer_load_dword v69, s[20:23], 0 offen lds               // 000000003AA4: E0511000 80050045
	s_add_u32 m0, 0x600, s48                                   // 000000003AAC: 807C30FF 00000600
	v_mfma_i32_16x16x32_i8 v[108:111], a[144:145], a[48:49], v[108:111]// 000000003AB4: D3D7006C 1DB26190
	v_mfma_i32_16x16x32_i8 v[108:111], a[146:147], a[50:51], v[108:111]// 000000003ABC: D3D7006C 1DB26592
	buffer_load_dword v70, s[20:23], 0 offen lds               // 000000003AC4: E0511000 80050046
	s_add_u32 m0, 0x700, s48                                   // 000000003ACC: 807C30FF 00000700
	v_mfma_i32_16x16x32_i8 v[108:111], a[148:149], a[52:53], v[108:111]// 000000003AD4: D3D7006C 1DB26994
	v_mfma_i32_16x16x32_i8 v[108:111], a[150:151], a[54:55], v[108:111]// 000000003ADC: D3D7006C 1DB26D96
	buffer_load_dword v71, s[20:23], 0 offen lds               // 000000003AE4: E0511000 80050047
	s_add_u32 m0, 0x800, s48                                   // 000000003AEC: 807C30FF 00000800
	v_mfma_i32_16x16x32_i8 v[112:115], a[144:145], a[56:57], v[112:115]// 000000003AF4: D3D70070 1DC27190
	v_mfma_i32_16x16x32_i8 v[112:115], a[146:147], a[58:59], v[112:115]// 000000003AFC: D3D70070 1DC27592
	buffer_load_dword v72, s[20:23], 0 offen lds               // 000000003B04: E0511000 80050048
	s_add_u32 m0, 0x900, s48                                   // 000000003B0C: 807C30FF 00000900
	v_mfma_i32_16x16x32_i8 v[112:115], a[148:149], a[60:61], v[112:115]// 000000003B14: D3D70070 1DC27994
	v_mfma_i32_16x16x32_i8 v[112:115], a[150:151], a[62:63], v[112:115]// 000000003B1C: D3D70070 1DC27D96
	buffer_load_dword v73, s[20:23], 0 offen lds               // 000000003B24: E0511000 80050049
	s_add_u32 m0, 0xa00, s48                                   // 000000003B2C: 807C30FF 00000A00
	v_mfma_i32_16x16x32_i8 v[116:119], a[144:145], a[64:65], v[116:119]// 000000003B34: D3D70074 1DD28190
	v_mfma_i32_16x16x32_i8 v[116:119], a[146:147], a[66:67], v[116:119]// 000000003B3C: D3D70074 1DD28592
	buffer_load_dword v74, s[20:23], 0 offen lds               // 000000003B44: E0511000 8005004A
	s_add_u32 m0, 0xb00, s48                                   // 000000003B4C: 807C30FF 00000B00
	v_mfma_i32_16x16x32_i8 v[116:119], a[148:149], a[68:69], v[116:119]// 000000003B54: D3D70074 1DD28994
	v_mfma_i32_16x16x32_i8 v[116:119], a[150:151], a[70:71], v[116:119]// 000000003B5C: D3D70074 1DD28D96
	buffer_load_dword v75, s[20:23], 0 offen lds               // 000000003B64: E0511000 8005004B
	s_add_u32 m0, 0xc00, s48                                   // 000000003B6C: 807C30FF 00000C00
	s_waitcnt vmcnt(16)                                        // 000000003B74: BF8C4F70
	v_mfma_i32_16x16x32_i8 v[120:123], a[152:153], a[0:1], v[120:123]// 000000003B78: D3D70078 1DE20198
	v_mfma_i32_16x16x32_i8 v[120:123], a[154:155], a[2:3], v[120:123]// 000000003B80: D3D70078 1DE2059A
	buffer_load_dword v76, s[20:23], 0 offen lds               // 000000003B88: E0511000 8005004C
	s_add_u32 m0, 0xd00, s48                                   // 000000003B90: 807C30FF 00000D00
	v_mfma_i32_16x16x32_i8 v[120:123], a[156:157], a[4:5], v[120:123]// 000000003B98: D3D70078 1DE2099C
	v_mfma_i32_16x16x32_i8 v[120:123], a[158:159], a[6:7], v[120:123]// 000000003BA0: D3D70078 1DE20D9E
	buffer_load_dword v77, s[20:23], 0 offen lds               // 000000003BA8: E0511000 8005004D
	s_add_u32 m0, 0xe00, s48                                   // 000000003BB0: 807C30FF 00000E00
	v_mfma_i32_16x16x32_i8 v[124:127], a[152:153], a[8:9], v[124:127]// 000000003BB8: D3D7007C 1DF21198
	v_mfma_i32_16x16x32_i8 v[124:127], a[154:155], a[10:11], v[124:127]// 000000003BC0: D3D7007C 1DF2159A
	buffer_load_dword v78, s[20:23], 0 offen lds               // 000000003BC8: E0511000 8005004E
	s_add_u32 m0, 0xf00, s48                                   // 000000003BD0: 807C30FF 00000F00
	v_mfma_i32_16x16x32_i8 v[124:127], a[156:157], a[12:13], v[124:127]// 000000003BD8: D3D7007C 1DF2199C
	v_mfma_i32_16x16x32_i8 v[124:127], a[158:159], a[14:15], v[124:127]// 000000003BE0: D3D7007C 1DF21D9E
	buffer_load_dword v79, s[20:23], 0 offen lds               // 000000003BE8: E0511000 8005004F
	s_add_u32 m0, 0x1000, s48                                  // 000000003BF0: 807C30FF 00001000
	v_mfma_i32_16x16x32_i8 v[128:131], a[152:153], a[16:17], v[128:131]// 000000003BF8: D3D70080 1E022198
	v_mfma_i32_16x16x32_i8 v[128:131], a[154:155], a[18:19], v[128:131]// 000000003C00: D3D70080 1E02259A
	buffer_load_dword v80, s[20:23], 0 offen lds               // 000000003C08: E0511000 80050050
	s_add_u32 m0, 0x1100, s48                                  // 000000003C10: 807C30FF 00001100
	v_mfma_i32_16x16x32_i8 v[128:131], a[156:157], a[20:21], v[128:131]// 000000003C18: D3D70080 1E02299C
	v_mfma_i32_16x16x32_i8 v[128:131], a[158:159], a[22:23], v[128:131]// 000000003C20: D3D70080 1E022D9E
	buffer_load_dword v81, s[20:23], 0 offen lds               // 000000003C28: E0511000 80050051
	s_add_u32 m0, 0, s49                                       // 000000003C30: 807C3180
	v_mfma_i32_16x16x32_i8 v[132:135], a[152:153], a[24:25], v[132:135]// 000000003C34: D3D70084 1E123198
	v_mfma_i32_16x16x32_i8 v[132:135], a[154:155], a[26:27], v[132:135]// 000000003C3C: D3D70084 1E12359A
	v_mfma_i32_16x16x32_i8 v[132:135], a[156:157], a[28:29], v[132:135]// 000000003C44: D3D70084 1E12399C
	v_mfma_i32_16x16x32_i8 v[132:135], a[158:159], a[30:31], v[132:135]// 000000003C4C: D3D70084 1E123D9E
	v_mfma_i32_16x16x32_i8 v[136:139], a[152:153], a[32:33], v[136:139]// 000000003C54: D3D70088 1E224198
	v_mfma_i32_16x16x32_i8 v[136:139], a[154:155], a[34:35], v[136:139]// 000000003C5C: D3D70088 1E22459A
	v_mfma_i32_16x16x32_i8 v[136:139], a[156:157], a[36:37], v[136:139]// 000000003C64: D3D70088 1E22499C
	v_mfma_i32_16x16x32_i8 v[136:139], a[158:159], a[38:39], v[136:139]// 000000003C6C: D3D70088 1E224D9E
	v_mfma_i32_16x16x32_i8 v[140:143], a[152:153], a[40:41], v[140:143]// 000000003C74: D3D7008C 1E325198
	v_mfma_i32_16x16x32_i8 v[140:143], a[154:155], a[42:43], v[140:143]// 000000003C7C: D3D7008C 1E32559A
	v_mfma_i32_16x16x32_i8 v[140:143], a[156:157], a[44:45], v[140:143]// 000000003C84: D3D7008C 1E32599C
	v_mfma_i32_16x16x32_i8 v[140:143], a[158:159], a[46:47], v[140:143]// 000000003C8C: D3D7008C 1E325D9E
	v_mfma_i32_16x16x32_i8 v[144:147], a[152:153], a[48:49], v[144:147]// 000000003C94: D3D70090 1E426198
	v_mfma_i32_16x16x32_i8 v[144:147], a[154:155], a[50:51], v[144:147]// 000000003C9C: D3D70090 1E42659A
	v_mfma_i32_16x16x32_i8 v[144:147], a[156:157], a[52:53], v[144:147]// 000000003CA4: D3D70090 1E42699C
	v_mfma_i32_16x16x32_i8 v[144:147], a[158:159], a[54:55], v[144:147]// 000000003CAC: D3D70090 1E426D9E
	v_mfma_i32_16x16x32_i8 v[148:151], a[152:153], a[56:57], v[148:151]// 000000003CB4: D3D70094 1E527198
	v_mfma_i32_16x16x32_i8 v[148:151], a[154:155], a[58:59], v[148:151]// 000000003CBC: D3D70094 1E52759A
	v_mfma_i32_16x16x32_i8 v[148:151], a[156:157], a[60:61], v[148:151]// 000000003CC4: D3D70094 1E52799C
	v_mfma_i32_16x16x32_i8 v[148:151], a[158:159], a[62:63], v[148:151]// 000000003CCC: D3D70094 1E527D9E
	v_mfma_i32_16x16x32_i8 v[152:155], a[152:153], a[64:65], v[152:155]// 000000003CD4: D3D70098 1E628198
	v_mfma_i32_16x16x32_i8 v[152:155], a[154:155], a[66:67], v[152:155]// 000000003CDC: D3D70098 1E62859A
	s_add_u32 s60, 0x80, s80                                   // 000000003CE4: 803C50FF 00000080
	s_cmp_lt_u32 s60, s81                                      // 000000003CEC: BF0A513C
	s_cselect_b32 s83, s83, 0                                  // 000000003CF0: 85538053
	v_mfma_i32_16x16x32_i8 v[152:155], a[156:157], a[68:69], v[152:155]// 000000003CF4: D3D70098 1E62899C
	v_mfma_i32_16x16x32_i8 v[152:155], a[158:159], a[70:71], v[152:155]// 000000003CFC: D3D70098 1E628D9E
	s_waitcnt vmcnt(18)                                        // 000000003D04: BF8C4F72
	v_mfma_i32_16x16x32_i8 v[156:159], a[160:161], a[0:1], v[156:159]// 000000003D08: D3D7009C 1E7201A0
	v_mfma_i32_16x16x32_i8 v[156:159], a[162:163], a[2:3], v[156:159]// 000000003D10: D3D7009C 1E7205A2
	buffer_load_dwordx4 a[144:147], v82, s[24:27], 0 offen     // 000000003D18: E05C1000 80869052
	v_mfma_i32_16x16x32_i8 v[156:159], a[164:165], a[4:5], v[156:159]// 000000003D20: D3D7009C 1E7209A4
	v_mfma_i32_16x16x32_i8 v[156:159], a[166:167], a[6:7], v[156:159]// 000000003D28: D3D7009C 1E720DA6
	ds_read_b128 a[72:75], v2 offset:18560                     // 000000003D30: DBFE4880 48000002
	ds_read_b128 a[76:79], v2 offset:18624                     // 000000003D38: DBFE48C0 4C000002
	v_mfma_i32_16x16x32_i8 v[192:195], a[168:169], a[0:1], v[192:195]// 000000003D40: D3D700C0 1F0201A8
	v_mfma_i32_16x16x32_i8 v[192:195], a[170:171], a[2:3], v[192:195]// 000000003D48: D3D700C0 1F0205AA
	buffer_load_dwordx4 a[148:151], v82, s[24:27], 0 offen offset:1024// 000000003D50: E05C1400 80869452
	v_mfma_i32_16x16x32_i8 v[192:195], a[172:173], a[4:5], v[192:195]// 000000003D58: D3D700C0 1F0209AC
	v_mfma_i32_16x16x32_i8 v[192:195], a[174:175], a[6:7], v[192:195]// 000000003D60: D3D700C0 1F020DAE
	ds_read_b128 a[80:83], v2 offset:19072                     // 000000003D68: DBFE4A80 50000002
	ds_read_b128 a[84:87], v2 offset:19136                     // 000000003D70: DBFE4AC0 54000002
	v_mfma_i32_16x16x32_i8 v[160:163], a[160:161], a[8:9], v[160:163]// 000000003D78: D3D700A0 1E8211A0
	v_mfma_i32_16x16x32_i8 v[160:163], a[162:163], a[10:11], v[160:163]// 000000003D80: D3D700A0 1E8215A2
	buffer_load_dwordx4 a[152:155], v83, s[24:27], 0 offen     // 000000003D88: E05C1000 80869853
	v_mfma_i32_16x16x32_i8 v[160:163], a[164:165], a[12:13], v[160:163]// 000000003D90: D3D700A0 1E8219A4
	v_mfma_i32_16x16x32_i8 v[160:163], a[166:167], a[14:15], v[160:163]// 000000003D98: D3D700A0 1E821DA6
	ds_read_b128 a[88:91], v2 offset:19584                     // 000000003DA0: DBFE4C80 58000002
	ds_read_b128 a[92:95], v2 offset:19648                     // 000000003DA8: DBFE4CC0 5C000002
	v_mfma_i32_16x16x32_i8 v[196:199], a[168:169], a[8:9], v[196:199]// 000000003DB0: D3D700C4 1F1211A8
	v_mfma_i32_16x16x32_i8 v[196:199], a[170:171], a[10:11], v[196:199]// 000000003DB8: D3D700C4 1F1215AA
	buffer_load_dwordx4 a[156:159], v83, s[24:27], 0 offen offset:1024// 000000003DC0: E05C1400 80869C53
	v_mfma_i32_16x16x32_i8 v[196:199], a[172:173], a[12:13], v[196:199]// 000000003DC8: D3D700C4 1F1219AC
	v_mfma_i32_16x16x32_i8 v[196:199], a[174:175], a[14:15], v[196:199]// 000000003DD0: D3D700C4 1F121DAE
	ds_read_b128 a[96:99], v2 offset:20096                     // 000000003DD8: DBFE4E80 60000002
	ds_read_b128 a[100:103], v2 offset:20160                   // 000000003DE0: DBFE4EC0 64000002
	v_mfma_i32_16x16x32_i8 v[164:167], a[160:161], a[16:17], v[164:167]// 000000003DE8: D3D700A4 1E9221A0
	v_mfma_i32_16x16x32_i8 v[164:167], a[162:163], a[18:19], v[164:167]// 000000003DF0: D3D700A4 1E9225A2
	v_mfma_i32_16x16x32_i8 v[164:167], a[164:165], a[20:21], v[164:167]// 000000003DF8: D3D700A4 1E9229A4
	v_mfma_i32_16x16x32_i8 v[164:167], a[166:167], a[22:23], v[164:167]// 000000003E00: D3D700A4 1E922DA6
	ds_read_b128 a[104:107], v2 offset:20608                   // 000000003E08: DBFE5080 68000002
	ds_read_b128 a[108:111], v2 offset:20672                   // 000000003E10: DBFE50C0 6C000002
	v_mfma_i32_16x16x32_i8 v[200:203], a[168:169], a[16:17], v[200:203]// 000000003E18: D3D700C8 1F2221A8
	v_mfma_i32_16x16x32_i8 v[200:203], a[170:171], a[18:19], v[200:203]// 000000003E20: D3D700C8 1F2225AA
	v_mfma_i32_16x16x32_i8 v[200:203], a[172:173], a[20:21], v[200:203]// 000000003E28: D3D700C8 1F2229AC
	v_mfma_i32_16x16x32_i8 v[200:203], a[174:175], a[22:23], v[200:203]// 000000003E30: D3D700C8 1F222DAE
	ds_read_b128 a[112:115], v2 offset:21120                   // 000000003E38: DBFE5280 70000002
	ds_read_b128 a[116:119], v2 offset:21184                   // 000000003E40: DBFE52C0 74000002
	v_mfma_i32_16x16x32_i8 v[168:171], a[160:161], a[24:25], v[168:171]// 000000003E48: D3D700A8 1EA231A0
	v_mfma_i32_16x16x32_i8 v[168:171], a[162:163], a[26:27], v[168:171]// 000000003E50: D3D700A8 1EA235A2
	v_mfma_i32_16x16x32_i8 v[168:171], a[164:165], a[28:29], v[168:171]// 000000003E58: D3D700A8 1EA239A4
	v_mfma_i32_16x16x32_i8 v[168:171], a[166:167], a[30:31], v[168:171]// 000000003E60: D3D700A8 1EA23DA6
	ds_read_b128 a[120:123], v2 offset:21632                   // 000000003E68: DBFE5480 78000002
	ds_read_b128 a[124:127], v2 offset:21696                   // 000000003E70: DBFE54C0 7C000002
	v_mfma_i32_16x16x32_i8 v[204:207], a[168:169], a[24:25], v[204:207]// 000000003E78: D3D700CC 1F3231A8
	v_mfma_i32_16x16x32_i8 v[204:207], a[170:171], a[26:27], v[204:207]// 000000003E80: D3D700CC 1F3235AA
	v_mfma_i32_16x16x32_i8 v[204:207], a[172:173], a[28:29], v[204:207]// 000000003E88: D3D700CC 1F3239AC
	v_mfma_i32_16x16x32_i8 v[204:207], a[174:175], a[30:31], v[204:207]// 000000003E90: D3D700CC 1F323DAE
	ds_read_b128 a[128:131], v2 offset:22144                   // 000000003E98: DBFE5680 80000002
	ds_read_b128 a[132:135], v2 offset:22208                   // 000000003EA0: DBFE56C0 84000002
	v_mfma_i32_16x16x32_i8 v[172:175], a[160:161], a[32:33], v[172:175]// 000000003EA8: D3D700AC 1EB241A0
	v_mfma_i32_16x16x32_i8 v[172:175], a[162:163], a[34:35], v[172:175]// 000000003EB0: D3D700AC 1EB245A2
	v_mfma_i32_16x16x32_i8 v[172:175], a[164:165], a[36:37], v[172:175]// 000000003EB8: D3D700AC 1EB249A4
	v_mfma_i32_16x16x32_i8 v[172:175], a[166:167], a[38:39], v[172:175]// 000000003EC0: D3D700AC 1EB24DA6
	ds_read_b128 a[136:139], v2 offset:22656                   // 000000003EC8: DBFE5880 88000002
	ds_read_b128 a[140:143], v2 offset:22720                   // 000000003ED0: DBFE58C0 8C000002
	v_mfma_i32_16x16x32_i8 v[208:211], a[168:169], a[32:33], v[208:211]// 000000003ED8: D3D700D0 1F4241A8
	v_mfma_i32_16x16x32_i8 v[208:211], a[170:171], a[34:35], v[208:211]// 000000003EE0: D3D700D0 1F4245AA
	v_mfma_i32_16x16x32_i8 v[208:211], a[172:173], a[36:37], v[208:211]// 000000003EE8: D3D700D0 1F4249AC
	v_mfma_i32_16x16x32_i8 v[208:211], a[174:175], a[38:39], v[208:211]// 000000003EF0: D3D700D0 1F424DAE
	v_mfma_i32_16x16x32_i8 v[176:179], a[160:161], a[40:41], v[176:179]// 000000003EF8: D3D700B0 1EC251A0
	v_mfma_i32_16x16x32_i8 v[176:179], a[162:163], a[42:43], v[176:179]// 000000003F00: D3D700B0 1EC255A2
	v_mfma_i32_16x16x32_i8 v[176:179], a[164:165], a[44:45], v[176:179]// 000000003F08: D3D700B0 1EC259A4
	v_mfma_i32_16x16x32_i8 v[176:179], a[166:167], a[46:47], v[176:179]// 000000003F10: D3D700B0 1EC25DA6
	v_mfma_i32_16x16x32_i8 v[212:215], a[168:169], a[40:41], v[212:215]// 000000003F18: D3D700D4 1F5251A8
	v_mfma_i32_16x16x32_i8 v[212:215], a[170:171], a[42:43], v[212:215]// 000000003F20: D3D700D4 1F5255AA
	v_mfma_i32_16x16x32_i8 v[212:215], a[172:173], a[44:45], v[212:215]// 000000003F28: D3D700D4 1F5259AC
	v_mfma_i32_16x16x32_i8 v[212:215], a[174:175], a[46:47], v[212:215]// 000000003F30: D3D700D4 1F525DAE
	v_mfma_i32_16x16x32_i8 v[180:183], a[160:161], a[48:49], v[180:183]// 000000003F38: D3D700B4 1ED261A0
	v_mfma_i32_16x16x32_i8 v[180:183], a[162:163], a[50:51], v[180:183]// 000000003F40: D3D700B4 1ED265A2
	v_mfma_i32_16x16x32_i8 v[180:183], a[164:165], a[52:53], v[180:183]// 000000003F48: D3D700B4 1ED269A4
	v_mfma_i32_16x16x32_i8 v[180:183], a[166:167], a[54:55], v[180:183]// 000000003F50: D3D700B4 1ED26DA6
	v_mfma_i32_16x16x32_i8 v[216:219], a[168:169], a[48:49], v[216:219]// 000000003F58: D3D700D8 1F6261A8
	v_mfma_i32_16x16x32_i8 v[216:219], a[170:171], a[50:51], v[216:219]// 000000003F60: D3D700D8 1F6265AA
	v_mfma_i32_16x16x32_i8 v[216:219], a[172:173], a[52:53], v[216:219]// 000000003F68: D3D700D8 1F6269AC
	v_mfma_i32_16x16x32_i8 v[216:219], a[174:175], a[54:55], v[216:219]// 000000003F70: D3D700D8 1F626DAE
	v_mfma_i32_16x16x32_i8 v[184:187], a[160:161], a[56:57], v[184:187]// 000000003F78: D3D700B8 1EE271A0
	v_mfma_i32_16x16x32_i8 v[184:187], a[162:163], a[58:59], v[184:187]// 000000003F80: D3D700B8 1EE275A2
	v_mfma_i32_16x16x32_i8 v[184:187], a[164:165], a[60:61], v[184:187]// 000000003F88: D3D700B8 1EE279A4
	v_mfma_i32_16x16x32_i8 v[184:187], a[166:167], a[62:63], v[184:187]// 000000003F90: D3D700B8 1EE27DA6
	v_mfma_i32_16x16x32_i8 v[220:223], a[168:169], a[56:57], v[220:223]// 000000003F98: D3D700DC 1F7271A8
	v_mfma_i32_16x16x32_i8 v[220:223], a[170:171], a[58:59], v[220:223]// 000000003FA0: D3D700DC 1F7275AA
	v_mfma_i32_16x16x32_i8 v[220:223], a[172:173], a[60:61], v[220:223]// 000000003FA8: D3D700DC 1F7279AC
	v_mfma_i32_16x16x32_i8 v[220:223], a[174:175], a[62:63], v[220:223]// 000000003FB0: D3D700DC 1F727DAE
	v_mfma_i32_16x16x32_i8 v[188:191], a[160:161], a[64:65], v[188:191]// 000000003FB8: D3D700BC 1EF281A0
	v_mfma_i32_16x16x32_i8 v[188:191], a[162:163], a[66:67], v[188:191]// 000000003FC0: D3D700BC 1EF285A2
	v_mfma_i32_16x16x32_i8 v[188:191], a[164:165], a[68:69], v[188:191]// 000000003FC8: D3D700BC 1EF289A4
	s_add_u32 s60, 0x180, s80                                  // 000000003FD0: 803C50FF 00000180
	s_cmp_lt_u32 s60, s81                                      // 000000003FD8: BF0A513C
	s_cselect_b32 s57, s57, 0                                  // 000000003FDC: 85398039
	v_mfma_i32_16x16x32_i8 v[188:191], a[166:167], a[70:71], v[188:191]// 000000003FE0: D3D700BC 1EF28DA6
	s_add_u32 s60, 0x100, s80                                  // 000000003FE8: 803C50FF 00000100
	s_cmp_lt_u32 s60, s81                                      // 000000003FF0: BF0A513C
	s_cselect_b32 s58, s58, 0                                  // 000000003FF4: 853A803A
	v_mfma_i32_16x16x32_i8 v[224:227], a[168:169], a[64:65], v[224:227]// 000000003FF8: D3D700E0 1F8281A8
	s_add_u32 s24, s58, s24                                    // 000000004000: 8018183A
	s_addc_u32 s25, 0, s25                                     // 000000004004: 82191980
	v_mfma_i32_16x16x32_i8 v[224:227], a[170:171], a[66:67], v[224:227]// 000000004008: D3D700E0 1F8285AA
	s_add_u32 s20, s57, s20                                    // 000000004010: 80141439
	s_addc_u32 s21, 0, s21                                     // 000000004014: 82151580
	v_mfma_i32_16x16x32_i8 v[224:227], a[172:173], a[68:69], v[224:227]// 000000004018: D3D700E0 1F8289AC
	s_add_u32 s84, s83, s84                                    // 000000004020: 80545453
	s_addc_u32 s85, 0, s85                                     // 000000004024: 82555580
	v_mfma_i32_16x16x32_i8 v[224:227], a[174:175], a[70:71], v[224:227]// 000000004028: D3D700E0 1F828DAE
	s_addk_i32 s80, 0x80                                       // 000000004030: B7500080
	s_cmp_lt_i32 s80, s81                                      // 000000004034: BF045150
	s_cbranch_scc0 label_0744                                  // 000000004038: BF8401B5
	s_waitcnt vmcnt(2) lgkmcnt(0)                              // 00000000403C: BF8C0072
	s_barrier                                                  // 000000004040: BF8A0000
	v_mfma_i32_16x16x32_i8 v[84:87], a[144:145], a[72:73], v[84:87]// 000000004044: D3D70054 1D529190
	v_mfma_i32_16x16x32_i8 v[84:87], a[146:147], a[74:75], v[84:87]// 00000000404C: D3D70054 1D529592
	buffer_load_dwordx4 a[160:163], v82, s[84:87], 0 offen     // 000000004054: E05C1000 8095A052
	v_mfma_i32_16x16x32_i8 v[84:87], a[148:149], a[76:77], v[84:87]// 00000000405C: D3D70054 1D529994
	v_mfma_i32_16x16x32_i8 v[84:87], a[150:151], a[78:79], v[84:87]// 000000004064: D3D70054 1D529D96
	v_mfma_i32_16x16x32_i8 v[88:91], a[144:145], a[80:81], v[88:91]// 00000000406C: D3D70058 1D62A190
	v_mfma_i32_16x16x32_i8 v[88:91], a[146:147], a[82:83], v[88:91]// 000000004074: D3D70058 1D62A592
	buffer_load_dwordx4 a[164:167], v82, s[84:87], 0 offen offset:1024// 00000000407C: E05C1400 8095A452
	v_mfma_i32_16x16x32_i8 v[88:91], a[148:149], a[84:85], v[88:91]// 000000004084: D3D70058 1D62A994
	v_mfma_i32_16x16x32_i8 v[88:91], a[150:151], a[86:87], v[88:91]// 00000000408C: D3D70058 1D62AD96
	v_mfma_i32_16x16x32_i8 v[92:95], a[144:145], a[88:89], v[92:95]// 000000004094: D3D7005C 1D72B190
	v_mfma_i32_16x16x32_i8 v[92:95], a[146:147], a[90:91], v[92:95]// 00000000409C: D3D7005C 1D72B592
	buffer_load_dwordx4 a[168:171], v83, s[84:87], 0 offen     // 0000000040A4: E05C1000 8095A853
	v_mfma_i32_16x16x32_i8 v[92:95], a[148:149], a[92:93], v[92:95]// 0000000040AC: D3D7005C 1D72B994
	v_mfma_i32_16x16x32_i8 v[92:95], a[150:151], a[94:95], v[92:95]// 0000000040B4: D3D7005C 1D72BD96
	v_mfma_i32_16x16x32_i8 v[96:99], a[144:145], a[96:97], v[96:99]// 0000000040BC: D3D70060 1D82C190
	v_mfma_i32_16x16x32_i8 v[96:99], a[146:147], a[98:99], v[96:99]// 0000000040C4: D3D70060 1D82C592
	buffer_load_dwordx4 a[172:175], v83, s[84:87], 0 offen offset:1024// 0000000040CC: E05C1400 8095AC53
	buffer_load_dword v64, s[20:23], 0 offen lds               // 0000000040D4: E0511000 80050040
	s_add_u32 m0, 0x100, s49                                   // 0000000040DC: 807C31FF 00000100
	v_mfma_i32_16x16x32_i8 v[96:99], a[148:149], a[100:101], v[96:99]// 0000000040E4: D3D70060 1D82C994
	v_mfma_i32_16x16x32_i8 v[96:99], a[150:151], a[102:103], v[96:99]// 0000000040EC: D3D70060 1D82CD96
	buffer_load_dword v65, s[20:23], 0 offen lds               // 0000000040F4: E0511000 80050041
	s_add_u32 m0, 0x200, s49                                   // 0000000040FC: 807C31FF 00000200
	v_mfma_i32_16x16x32_i8 v[100:103], a[144:145], a[104:105], v[100:103]// 000000004104: D3D70064 1D92D190
	v_mfma_i32_16x16x32_i8 v[100:103], a[146:147], a[106:107], v[100:103]// 00000000410C: D3D70064 1D92D592
	buffer_load_dword v66, s[20:23], 0 offen lds               // 000000004114: E0511000 80050042
	s_add_u32 m0, 0x300, s49                                   // 00000000411C: 807C31FF 00000300
	v_mfma_i32_16x16x32_i8 v[100:103], a[148:149], a[108:109], v[100:103]// 000000004124: D3D70064 1D92D994
	v_mfma_i32_16x16x32_i8 v[100:103], a[150:151], a[110:111], v[100:103]// 00000000412C: D3D70064 1D92DD96
	buffer_load_dword v67, s[20:23], 0 offen lds               // 000000004134: E0511000 80050043
	s_add_u32 m0, 0x400, s49                                   // 00000000413C: 807C31FF 00000400
	v_mfma_i32_16x16x32_i8 v[104:107], a[144:145], a[112:113], v[104:107]// 000000004144: D3D70068 1DA2E190
	v_mfma_i32_16x16x32_i8 v[104:107], a[146:147], a[114:115], v[104:107]// 00000000414C: D3D70068 1DA2E592
	buffer_load_dword v68, s[20:23], 0 offen lds               // 000000004154: E0511000 80050044
	s_add_u32 m0, 0x500, s49                                   // 00000000415C: 807C31FF 00000500
	v_mfma_i32_16x16x32_i8 v[104:107], a[148:149], a[116:117], v[104:107]// 000000004164: D3D70068 1DA2E994
	v_mfma_i32_16x16x32_i8 v[104:107], a[150:151], a[118:119], v[104:107]// 00000000416C: D3D70068 1DA2ED96
	buffer_load_dword v69, s[20:23], 0 offen lds               // 000000004174: E0511000 80050045
	s_add_u32 m0, 0x600, s49                                   // 00000000417C: 807C31FF 00000600
	v_mfma_i32_16x16x32_i8 v[108:111], a[144:145], a[120:121], v[108:111]// 000000004184: D3D7006C 1DB2F190
	v_mfma_i32_16x16x32_i8 v[108:111], a[146:147], a[122:123], v[108:111]// 00000000418C: D3D7006C 1DB2F592
	buffer_load_dword v70, s[20:23], 0 offen lds               // 000000004194: E0511000 80050046
	s_add_u32 m0, 0x700, s49                                   // 00000000419C: 807C31FF 00000700
	v_mfma_i32_16x16x32_i8 v[108:111], a[148:149], a[124:125], v[108:111]// 0000000041A4: D3D7006C 1DB2F994
	v_mfma_i32_16x16x32_i8 v[108:111], a[150:151], a[126:127], v[108:111]// 0000000041AC: D3D7006C 1DB2FD96
	buffer_load_dword v71, s[20:23], 0 offen lds               // 0000000041B4: E0511000 80050047
	s_add_u32 m0, 0x800, s49                                   // 0000000041BC: 807C31FF 00000800
	v_mfma_i32_16x16x32_i8 v[112:115], a[144:145], a[128:129], v[112:115]// 0000000041C4: D3D70070 1DC30190
	v_mfma_i32_16x16x32_i8 v[112:115], a[146:147], a[130:131], v[112:115]// 0000000041CC: D3D70070 1DC30592
	buffer_load_dword v72, s[20:23], 0 offen lds               // 0000000041D4: E0511000 80050048
	s_add_u32 m0, 0x900, s49                                   // 0000000041DC: 807C31FF 00000900
	v_mfma_i32_16x16x32_i8 v[112:115], a[148:149], a[132:133], v[112:115]// 0000000041E4: D3D70070 1DC30994
	v_mfma_i32_16x16x32_i8 v[112:115], a[150:151], a[134:135], v[112:115]// 0000000041EC: D3D70070 1DC30D96
	buffer_load_dword v73, s[20:23], 0 offen lds               // 0000000041F4: E0511000 80050049
	s_add_u32 m0, 0xa00, s49                                   // 0000000041FC: 807C31FF 00000A00
	v_mfma_i32_16x16x32_i8 v[116:119], a[144:145], a[136:137], v[116:119]// 000000004204: D3D70074 1DD31190
	v_mfma_i32_16x16x32_i8 v[116:119], a[146:147], a[138:139], v[116:119]// 00000000420C: D3D70074 1DD31592
	buffer_load_dword v74, s[20:23], 0 offen lds               // 000000004214: E0511000 8005004A
	s_add_u32 m0, 0xb00, s49                                   // 00000000421C: 807C31FF 00000B00
	v_mfma_i32_16x16x32_i8 v[116:119], a[148:149], a[140:141], v[116:119]// 000000004224: D3D70074 1DD31994
	v_mfma_i32_16x16x32_i8 v[116:119], a[150:151], a[142:143], v[116:119]// 00000000422C: D3D70074 1DD31D96
	buffer_load_dword v75, s[20:23], 0 offen lds               // 000000004234: E0511000 8005004B
	s_add_u32 m0, 0xc00, s49                                   // 00000000423C: 807C31FF 00000C00
	s_waitcnt vmcnt(16)                                        // 000000004244: BF8C4F70
	v_mfma_i32_16x16x32_i8 v[120:123], a[152:153], a[72:73], v[120:123]// 000000004248: D3D70078 1DE29198
	v_mfma_i32_16x16x32_i8 v[120:123], a[154:155], a[74:75], v[120:123]// 000000004250: D3D70078 1DE2959A
	buffer_load_dword v76, s[20:23], 0 offen lds               // 000000004258: E0511000 8005004C
	s_add_u32 m0, 0xd00, s49                                   // 000000004260: 807C31FF 00000D00
	v_mfma_i32_16x16x32_i8 v[120:123], a[156:157], a[76:77], v[120:123]// 000000004268: D3D70078 1DE2999C
	v_mfma_i32_16x16x32_i8 v[120:123], a[158:159], a[78:79], v[120:123]// 000000004270: D3D70078 1DE29D9E
	buffer_load_dword v77, s[20:23], 0 offen lds               // 000000004278: E0511000 8005004D
	s_add_u32 m0, 0xe00, s49                                   // 000000004280: 807C31FF 00000E00
	v_mfma_i32_16x16x32_i8 v[124:127], a[152:153], a[80:81], v[124:127]// 000000004288: D3D7007C 1DF2A198
	v_mfma_i32_16x16x32_i8 v[124:127], a[154:155], a[82:83], v[124:127]// 000000004290: D3D7007C 1DF2A59A
	buffer_load_dword v78, s[20:23], 0 offen lds               // 000000004298: E0511000 8005004E
	s_add_u32 m0, 0xf00, s49                                   // 0000000042A0: 807C31FF 00000F00
	v_mfma_i32_16x16x32_i8 v[124:127], a[156:157], a[84:85], v[124:127]// 0000000042A8: D3D7007C 1DF2A99C
	v_mfma_i32_16x16x32_i8 v[124:127], a[158:159], a[86:87], v[124:127]// 0000000042B0: D3D7007C 1DF2AD9E
	buffer_load_dword v79, s[20:23], 0 offen lds               // 0000000042B8: E0511000 8005004F
	s_add_u32 m0, 0x1000, s49                                  // 0000000042C0: 807C31FF 00001000
	v_mfma_i32_16x16x32_i8 v[128:131], a[152:153], a[88:89], v[128:131]// 0000000042C8: D3D70080 1E02B198
	v_mfma_i32_16x16x32_i8 v[128:131], a[154:155], a[90:91], v[128:131]// 0000000042D0: D3D70080 1E02B59A
	buffer_load_dword v80, s[20:23], 0 offen lds               // 0000000042D8: E0511000 80050050
	s_add_u32 m0, 0x1100, s49                                  // 0000000042E0: 807C31FF 00001100
	v_mfma_i32_16x16x32_i8 v[128:131], a[156:157], a[92:93], v[128:131]// 0000000042E8: D3D70080 1E02B99C
	v_mfma_i32_16x16x32_i8 v[128:131], a[158:159], a[94:95], v[128:131]// 0000000042F0: D3D70080 1E02BD9E
	buffer_load_dword v81, s[20:23], 0 offen lds               // 0000000042F8: E0511000 80050051
	s_add_u32 m0, 0, s48                                       // 000000004300: 807C3080
	v_mfma_i32_16x16x32_i8 v[132:135], a[152:153], a[96:97], v[132:135]// 000000004304: D3D70084 1E12C198
	v_mfma_i32_16x16x32_i8 v[132:135], a[154:155], a[98:99], v[132:135]// 00000000430C: D3D70084 1E12C59A
	v_mfma_i32_16x16x32_i8 v[132:135], a[156:157], a[100:101], v[132:135]// 000000004314: D3D70084 1E12C99C
	v_mfma_i32_16x16x32_i8 v[132:135], a[158:159], a[102:103], v[132:135]// 00000000431C: D3D70084 1E12CD9E
	v_mfma_i32_16x16x32_i8 v[136:139], a[152:153], a[104:105], v[136:139]// 000000004324: D3D70088 1E22D198
	v_mfma_i32_16x16x32_i8 v[136:139], a[154:155], a[106:107], v[136:139]// 00000000432C: D3D70088 1E22D59A
	v_mfma_i32_16x16x32_i8 v[136:139], a[156:157], a[108:109], v[136:139]// 000000004334: D3D70088 1E22D99C
	v_mfma_i32_16x16x32_i8 v[136:139], a[158:159], a[110:111], v[136:139]// 00000000433C: D3D70088 1E22DD9E
	v_mfma_i32_16x16x32_i8 v[140:143], a[152:153], a[112:113], v[140:143]// 000000004344: D3D7008C 1E32E198
	v_mfma_i32_16x16x32_i8 v[140:143], a[154:155], a[114:115], v[140:143]// 00000000434C: D3D7008C 1E32E59A
	v_mfma_i32_16x16x32_i8 v[140:143], a[156:157], a[116:117], v[140:143]// 000000004354: D3D7008C 1E32E99C
	v_mfma_i32_16x16x32_i8 v[140:143], a[158:159], a[118:119], v[140:143]// 00000000435C: D3D7008C 1E32ED9E
	v_mfma_i32_16x16x32_i8 v[144:147], a[152:153], a[120:121], v[144:147]// 000000004364: D3D70090 1E42F198
	v_mfma_i32_16x16x32_i8 v[144:147], a[154:155], a[122:123], v[144:147]// 00000000436C: D3D70090 1E42F59A
	v_mfma_i32_16x16x32_i8 v[144:147], a[156:157], a[124:125], v[144:147]// 000000004374: D3D70090 1E42F99C
	v_mfma_i32_16x16x32_i8 v[144:147], a[158:159], a[126:127], v[144:147]// 00000000437C: D3D70090 1E42FD9E
	v_mfma_i32_16x16x32_i8 v[148:151], a[152:153], a[128:129], v[148:151]// 000000004384: D3D70094 1E530198
	v_mfma_i32_16x16x32_i8 v[148:151], a[154:155], a[130:131], v[148:151]// 00000000438C: D3D70094 1E53059A
	v_mfma_i32_16x16x32_i8 v[148:151], a[156:157], a[132:133], v[148:151]// 000000004394: D3D70094 1E53099C
	v_mfma_i32_16x16x32_i8 v[148:151], a[158:159], a[134:135], v[148:151]// 00000000439C: D3D70094 1E530D9E
	v_mfma_i32_16x16x32_i8 v[152:155], a[152:153], a[136:137], v[152:155]// 0000000043A4: D3D70098 1E631198
	v_mfma_i32_16x16x32_i8 v[152:155], a[154:155], a[138:139], v[152:155]// 0000000043AC: D3D70098 1E63159A
	s_add_u32 s60, 0x80, s80                                   // 0000000043B4: 803C50FF 00000080
	s_cmp_lt_u32 s60, s81                                      // 0000000043BC: BF0A513C
	s_cselect_b32 s83, s83, 0                                  // 0000000043C0: 85538053
	v_mfma_i32_16x16x32_i8 v[152:155], a[156:157], a[140:141], v[152:155]// 0000000043C4: D3D70098 1E63199C
	v_mfma_i32_16x16x32_i8 v[152:155], a[158:159], a[142:143], v[152:155]// 0000000043CC: D3D70098 1E631D9E
	s_waitcnt vmcnt(18)                                        // 0000000043D4: BF8C4F72
	v_mfma_i32_16x16x32_i8 v[156:159], a[160:161], a[72:73], v[156:159]// 0000000043D8: D3D7009C 1E7291A0
	v_mfma_i32_16x16x32_i8 v[156:159], a[162:163], a[74:75], v[156:159]// 0000000043E0: D3D7009C 1E7295A2
	buffer_load_dwordx4 a[144:147], v82, s[24:27], 0 offen     // 0000000043E8: E05C1000 80869052
	v_mfma_i32_16x16x32_i8 v[156:159], a[164:165], a[76:77], v[156:159]// 0000000043F0: D3D7009C 1E7299A4
	v_mfma_i32_16x16x32_i8 v[156:159], a[166:167], a[78:79], v[156:159]// 0000000043F8: D3D7009C 1E729DA6
	ds_read_b128 a[0:3], v2                                    // 000000004400: DBFE0000 00000002
	ds_read_b128 a[4:7], v2 offset:64                          // 000000004408: DBFE0040 04000002
	v_mfma_i32_16x16x32_i8 v[192:195], a[168:169], a[72:73], v[192:195]// 000000004410: D3D700C0 1F0291A8
	v_mfma_i32_16x16x32_i8 v[192:195], a[170:171], a[74:75], v[192:195]// 000000004418: D3D700C0 1F0295AA
	buffer_load_dwordx4 a[148:151], v82, s[24:27], 0 offen offset:1024// 000000004420: E05C1400 80869452
	v_mfma_i32_16x16x32_i8 v[192:195], a[172:173], a[76:77], v[192:195]// 000000004428: D3D700C0 1F0299AC
	v_mfma_i32_16x16x32_i8 v[192:195], a[174:175], a[78:79], v[192:195]// 000000004430: D3D700C0 1F029DAE
	ds_read_b128 a[8:11], v2 offset:512                        // 000000004438: DBFE0200 08000002
	ds_read_b128 a[12:15], v2 offset:576                       // 000000004440: DBFE0240 0C000002
	v_mfma_i32_16x16x32_i8 v[160:163], a[160:161], a[80:81], v[160:163]// 000000004448: D3D700A0 1E82A1A0
	v_mfma_i32_16x16x32_i8 v[160:163], a[162:163], a[82:83], v[160:163]// 000000004450: D3D700A0 1E82A5A2
	buffer_load_dwordx4 a[152:155], v83, s[24:27], 0 offen     // 000000004458: E05C1000 80869853
	v_mfma_i32_16x16x32_i8 v[160:163], a[164:165], a[84:85], v[160:163]// 000000004460: D3D700A0 1E82A9A4
	v_mfma_i32_16x16x32_i8 v[160:163], a[166:167], a[86:87], v[160:163]// 000000004468: D3D700A0 1E82ADA6
	ds_read_b128 a[16:19], v2 offset:1024                      // 000000004470: DBFE0400 10000002
	ds_read_b128 a[20:23], v2 offset:1088                      // 000000004478: DBFE0440 14000002
	v_mfma_i32_16x16x32_i8 v[196:199], a[168:169], a[80:81], v[196:199]// 000000004480: D3D700C4 1F12A1A8
	v_mfma_i32_16x16x32_i8 v[196:199], a[170:171], a[82:83], v[196:199]// 000000004488: D3D700C4 1F12A5AA
	buffer_load_dwordx4 a[156:159], v83, s[24:27], 0 offen offset:1024// 000000004490: E05C1400 80869C53
	v_mfma_i32_16x16x32_i8 v[196:199], a[172:173], a[84:85], v[196:199]// 000000004498: D3D700C4 1F12A9AC
	v_mfma_i32_16x16x32_i8 v[196:199], a[174:175], a[86:87], v[196:199]// 0000000044A0: D3D700C4 1F12ADAE
	ds_read_b128 a[24:27], v2 offset:1536                      // 0000000044A8: DBFE0600 18000002
	ds_read_b128 a[28:31], v2 offset:1600                      // 0000000044B0: DBFE0640 1C000002
	v_mfma_i32_16x16x32_i8 v[164:167], a[160:161], a[88:89], v[164:167]// 0000000044B8: D3D700A4 1E92B1A0
	v_mfma_i32_16x16x32_i8 v[164:167], a[162:163], a[90:91], v[164:167]// 0000000044C0: D3D700A4 1E92B5A2
	v_mfma_i32_16x16x32_i8 v[164:167], a[164:165], a[92:93], v[164:167]// 0000000044C8: D3D700A4 1E92B9A4
	v_mfma_i32_16x16x32_i8 v[164:167], a[166:167], a[94:95], v[164:167]// 0000000044D0: D3D700A4 1E92BDA6
	ds_read_b128 a[32:35], v2 offset:2048                      // 0000000044D8: DBFE0800 20000002
	ds_read_b128 a[36:39], v2 offset:2112                      // 0000000044E0: DBFE0840 24000002
	v_mfma_i32_16x16x32_i8 v[200:203], a[168:169], a[88:89], v[200:203]// 0000000044E8: D3D700C8 1F22B1A8
	v_mfma_i32_16x16x32_i8 v[200:203], a[170:171], a[90:91], v[200:203]// 0000000044F0: D3D700C8 1F22B5AA
	v_mfma_i32_16x16x32_i8 v[200:203], a[172:173], a[92:93], v[200:203]// 0000000044F8: D3D700C8 1F22B9AC
	v_mfma_i32_16x16x32_i8 v[200:203], a[174:175], a[94:95], v[200:203]// 000000004500: D3D700C8 1F22BDAE
	ds_read_b128 a[40:43], v2 offset:2560                      // 000000004508: DBFE0A00 28000002
	ds_read_b128 a[44:47], v2 offset:2624                      // 000000004510: DBFE0A40 2C000002
	v_mfma_i32_16x16x32_i8 v[168:171], a[160:161], a[96:97], v[168:171]// 000000004518: D3D700A8 1EA2C1A0
	v_mfma_i32_16x16x32_i8 v[168:171], a[162:163], a[98:99], v[168:171]// 000000004520: D3D700A8 1EA2C5A2
	v_mfma_i32_16x16x32_i8 v[168:171], a[164:165], a[100:101], v[168:171]// 000000004528: D3D700A8 1EA2C9A4
	v_mfma_i32_16x16x32_i8 v[168:171], a[166:167], a[102:103], v[168:171]// 000000004530: D3D700A8 1EA2CDA6
	ds_read_b128 a[48:51], v2 offset:3072                      // 000000004538: DBFE0C00 30000002
	ds_read_b128 a[52:55], v2 offset:3136                      // 000000004540: DBFE0C40 34000002
	v_mfma_i32_16x16x32_i8 v[204:207], a[168:169], a[96:97], v[204:207]// 000000004548: D3D700CC 1F32C1A8
	v_mfma_i32_16x16x32_i8 v[204:207], a[170:171], a[98:99], v[204:207]// 000000004550: D3D700CC 1F32C5AA
	v_mfma_i32_16x16x32_i8 v[204:207], a[172:173], a[100:101], v[204:207]// 000000004558: D3D700CC 1F32C9AC
	v_mfma_i32_16x16x32_i8 v[204:207], a[174:175], a[102:103], v[204:207]// 000000004560: D3D700CC 1F32CDAE
	ds_read_b128 a[56:59], v2 offset:3584                      // 000000004568: DBFE0E00 38000002
	ds_read_b128 a[60:63], v2 offset:3648                      // 000000004570: DBFE0E40 3C000002
	v_mfma_i32_16x16x32_i8 v[172:175], a[160:161], a[104:105], v[172:175]// 000000004578: D3D700AC 1EB2D1A0
	v_mfma_i32_16x16x32_i8 v[172:175], a[162:163], a[106:107], v[172:175]// 000000004580: D3D700AC 1EB2D5A2
	v_mfma_i32_16x16x32_i8 v[172:175], a[164:165], a[108:109], v[172:175]// 000000004588: D3D700AC 1EB2D9A4
	v_mfma_i32_16x16x32_i8 v[172:175], a[166:167], a[110:111], v[172:175]// 000000004590: D3D700AC 1EB2DDA6
	ds_read_b128 a[64:67], v2 offset:4096                      // 000000004598: DBFE1000 40000002
	ds_read_b128 a[68:71], v2 offset:4160                      // 0000000045A0: DBFE1040 44000002
	v_mfma_i32_16x16x32_i8 v[208:211], a[168:169], a[104:105], v[208:211]// 0000000045A8: D3D700D0 1F42D1A8
	v_mfma_i32_16x16x32_i8 v[208:211], a[170:171], a[106:107], v[208:211]// 0000000045B0: D3D700D0 1F42D5AA
	v_mfma_i32_16x16x32_i8 v[208:211], a[172:173], a[108:109], v[208:211]// 0000000045B8: D3D700D0 1F42D9AC
	v_mfma_i32_16x16x32_i8 v[208:211], a[174:175], a[110:111], v[208:211]// 0000000045C0: D3D700D0 1F42DDAE
	v_mfma_i32_16x16x32_i8 v[176:179], a[160:161], a[112:113], v[176:179]// 0000000045C8: D3D700B0 1EC2E1A0
	v_mfma_i32_16x16x32_i8 v[176:179], a[162:163], a[114:115], v[176:179]// 0000000045D0: D3D700B0 1EC2E5A2
	v_mfma_i32_16x16x32_i8 v[176:179], a[164:165], a[116:117], v[176:179]// 0000000045D8: D3D700B0 1EC2E9A4
	v_mfma_i32_16x16x32_i8 v[176:179], a[166:167], a[118:119], v[176:179]// 0000000045E0: D3D700B0 1EC2EDA6
	v_mfma_i32_16x16x32_i8 v[212:215], a[168:169], a[112:113], v[212:215]// 0000000045E8: D3D700D4 1F52E1A8
	v_mfma_i32_16x16x32_i8 v[212:215], a[170:171], a[114:115], v[212:215]// 0000000045F0: D3D700D4 1F52E5AA
	v_mfma_i32_16x16x32_i8 v[212:215], a[172:173], a[116:117], v[212:215]// 0000000045F8: D3D700D4 1F52E9AC
	v_mfma_i32_16x16x32_i8 v[212:215], a[174:175], a[118:119], v[212:215]// 000000004600: D3D700D4 1F52EDAE
	v_mfma_i32_16x16x32_i8 v[180:183], a[160:161], a[120:121], v[180:183]// 000000004608: D3D700B4 1ED2F1A0
	v_mfma_i32_16x16x32_i8 v[180:183], a[162:163], a[122:123], v[180:183]// 000000004610: D3D700B4 1ED2F5A2
	v_mfma_i32_16x16x32_i8 v[180:183], a[164:165], a[124:125], v[180:183]// 000000004618: D3D700B4 1ED2F9A4
	v_mfma_i32_16x16x32_i8 v[180:183], a[166:167], a[126:127], v[180:183]// 000000004620: D3D700B4 1ED2FDA6
	v_mfma_i32_16x16x32_i8 v[216:219], a[168:169], a[120:121], v[216:219]// 000000004628: D3D700D8 1F62F1A8
	v_mfma_i32_16x16x32_i8 v[216:219], a[170:171], a[122:123], v[216:219]// 000000004630: D3D700D8 1F62F5AA
	v_mfma_i32_16x16x32_i8 v[216:219], a[172:173], a[124:125], v[216:219]// 000000004638: D3D700D8 1F62F9AC
	v_mfma_i32_16x16x32_i8 v[216:219], a[174:175], a[126:127], v[216:219]// 000000004640: D3D700D8 1F62FDAE
	v_mfma_i32_16x16x32_i8 v[184:187], a[160:161], a[128:129], v[184:187]// 000000004648: D3D700B8 1EE301A0
	v_mfma_i32_16x16x32_i8 v[184:187], a[162:163], a[130:131], v[184:187]// 000000004650: D3D700B8 1EE305A2
	v_mfma_i32_16x16x32_i8 v[184:187], a[164:165], a[132:133], v[184:187]// 000000004658: D3D700B8 1EE309A4
	v_mfma_i32_16x16x32_i8 v[184:187], a[166:167], a[134:135], v[184:187]// 000000004660: D3D700B8 1EE30DA6
	v_mfma_i32_16x16x32_i8 v[220:223], a[168:169], a[128:129], v[220:223]// 000000004668: D3D700DC 1F7301A8
	v_mfma_i32_16x16x32_i8 v[220:223], a[170:171], a[130:131], v[220:223]// 000000004670: D3D700DC 1F7305AA
	v_mfma_i32_16x16x32_i8 v[220:223], a[172:173], a[132:133], v[220:223]// 000000004678: D3D700DC 1F7309AC
	v_mfma_i32_16x16x32_i8 v[220:223], a[174:175], a[134:135], v[220:223]// 000000004680: D3D700DC 1F730DAE
	v_mfma_i32_16x16x32_i8 v[188:191], a[160:161], a[136:137], v[188:191]// 000000004688: D3D700BC 1EF311A0
	v_mfma_i32_16x16x32_i8 v[188:191], a[162:163], a[138:139], v[188:191]// 000000004690: D3D700BC 1EF315A2
	v_mfma_i32_16x16x32_i8 v[188:191], a[164:165], a[140:141], v[188:191]// 000000004698: D3D700BC 1EF319A4
	s_add_u32 s60, 0x180, s80                                  // 0000000046A0: 803C50FF 00000180
	s_cmp_lt_u32 s60, s81                                      // 0000000046A8: BF0A513C
	s_cselect_b32 s57, s57, 0                                  // 0000000046AC: 85398039
	v_mfma_i32_16x16x32_i8 v[188:191], a[166:167], a[142:143], v[188:191]// 0000000046B0: D3D700BC 1EF31DA6
	s_add_u32 s60, 0x100, s80                                  // 0000000046B8: 803C50FF 00000100
	s_cmp_lt_u32 s60, s81                                      // 0000000046C0: BF0A513C
	s_cselect_b32 s58, s58, 0                                  // 0000000046C4: 853A803A
	v_mfma_i32_16x16x32_i8 v[224:227], a[168:169], a[136:137], v[224:227]// 0000000046C8: D3D700E0 1F8311A8
	s_add_u32 s24, s58, s24                                    // 0000000046D0: 8018183A
	s_addc_u32 s25, 0, s25                                     // 0000000046D4: 82191980
	v_mfma_i32_16x16x32_i8 v[224:227], a[170:171], a[138:139], v[224:227]// 0000000046D8: D3D700E0 1F8315AA
	s_add_u32 s20, s57, s20                                    // 0000000046E0: 80141439
	s_addc_u32 s21, 0, s21                                     // 0000000046E4: 82151580
	v_mfma_i32_16x16x32_i8 v[224:227], a[172:173], a[140:141], v[224:227]// 0000000046E8: D3D700E0 1F8319AC
	s_add_u32 s84, s83, s84                                    // 0000000046F0: 80545453
	s_addc_u32 s85, 0, s85                                     // 0000000046F4: 82555580
	v_mfma_i32_16x16x32_i8 v[224:227], a[174:175], a[142:143], v[224:227]// 0000000046F8: D3D700E0 1F831DAE
	s_addk_i32 s80, 0x80                                       // 000000004700: B7500080
	s_cmp_lt_i32 s80, s81                                      // 000000004704: BF045150
	s_cbranch_scc0 label_0744                                  // 000000004708: BF840001
	s_branch label_03DB                                        // 00000000470C: BF82FC97

0000000000004710 <label_0744>:
	v_cvt_f32_i32_e32 v84, v84                                 // 000000004710: 7EA80B54
	v_cvt_f32_i32_e32 v85, v85                                 // 000000004714: 7EAA0B55
	v_cvt_f32_i32_e32 v86, v86                                 // 000000004718: 7EAC0B56
	v_cvt_f32_i32_e32 v87, v87                                 // 00000000471C: 7EAE0B57
	v_mul_f32_dpp v84, v24, v84 row_newbcast:0 row_mask:0xf bank_mask:0xf// 000000004720: 0AA8A8FA FF015018
	v_mul_f32_dpp v85, v24, v85 row_newbcast:1 row_mask:0xf bank_mask:0xf// 000000004728: 0AAAAAFA FF015118
	v_mul_f32_dpp v86, v24, v86 row_newbcast:2 row_mask:0xf bank_mask:0xf// 000000004730: 0AACACFA FF015218
	v_mul_f32_dpp v87, v24, v87 row_newbcast:3 row_mask:0xf bank_mask:0xf// 000000004738: 0AAEAEFA FF015318
	v_cvt_f32_i32_e32 v88, v88                                 // 000000004740: 7EB00B58
	v_cvt_f32_i32_e32 v89, v89                                 // 000000004744: 7EB20B59
	v_cvt_f32_i32_e32 v90, v90                                 // 000000004748: 7EB40B5A
	v_cvt_f32_i32_e32 v91, v91                                 // 00000000474C: 7EB60B5B
	v_mul_f32_dpp v88, v24, v88 row_newbcast:0 row_mask:0xf bank_mask:0xf// 000000004750: 0AB0B0FA FF015018
	v_mul_f32_dpp v89, v24, v89 row_newbcast:1 row_mask:0xf bank_mask:0xf// 000000004758: 0AB2B2FA FF015118
	v_mul_f32_dpp v90, v24, v90 row_newbcast:2 row_mask:0xf bank_mask:0xf// 000000004760: 0AB4B4FA FF015218
	v_mul_f32_dpp v91, v24, v91 row_newbcast:3 row_mask:0xf bank_mask:0xf// 000000004768: 0AB6B6FA FF015318
	v_cvt_f32_i32_e32 v92, v92                                 // 000000004770: 7EB80B5C
	v_cvt_f32_i32_e32 v93, v93                                 // 000000004774: 7EBA0B5D
	v_cvt_f32_i32_e32 v94, v94                                 // 000000004778: 7EBC0B5E
	v_cvt_f32_i32_e32 v95, v95                                 // 00000000477C: 7EBE0B5F
	v_mul_f32_dpp v92, v24, v92 row_newbcast:0 row_mask:0xf bank_mask:0xf// 000000004780: 0AB8B8FA FF015018
	v_mul_f32_dpp v93, v24, v93 row_newbcast:1 row_mask:0xf bank_mask:0xf// 000000004788: 0ABABAFA FF015118
	v_mul_f32_dpp v94, v24, v94 row_newbcast:2 row_mask:0xf bank_mask:0xf// 000000004790: 0ABCBCFA FF015218
	v_mul_f32_dpp v95, v24, v95 row_newbcast:3 row_mask:0xf bank_mask:0xf// 000000004798: 0ABEBEFA FF015318
	v_cvt_f32_i32_e32 v96, v96                                 // 0000000047A0: 7EC00B60
	v_cvt_f32_i32_e32 v97, v97                                 // 0000000047A4: 7EC20B61
	v_cvt_f32_i32_e32 v98, v98                                 // 0000000047A8: 7EC40B62
	v_cvt_f32_i32_e32 v99, v99                                 // 0000000047AC: 7EC60B63
	v_mul_f32_dpp v96, v24, v96 row_newbcast:0 row_mask:0xf bank_mask:0xf// 0000000047B0: 0AC0C0FA FF015018
	v_mul_f32_dpp v97, v24, v97 row_newbcast:1 row_mask:0xf bank_mask:0xf// 0000000047B8: 0AC2C2FA FF015118
	v_mul_f32_dpp v98, v24, v98 row_newbcast:2 row_mask:0xf bank_mask:0xf// 0000000047C0: 0AC4C4FA FF015218
	v_mul_f32_dpp v99, v24, v99 row_newbcast:3 row_mask:0xf bank_mask:0xf// 0000000047C8: 0AC6C6FA FF015318
	v_cvt_f32_i32_e32 v100, v100                               // 0000000047D0: 7EC80B64
	v_cvt_f32_i32_e32 v101, v101                               // 0000000047D4: 7ECA0B65
	v_cvt_f32_i32_e32 v102, v102                               // 0000000047D8: 7ECC0B66
	v_cvt_f32_i32_e32 v103, v103                               // 0000000047DC: 7ECE0B67
	v_mul_f32_dpp v100, v24, v100 row_newbcast:0 row_mask:0xf bank_mask:0xf// 0000000047E0: 0AC8C8FA FF015018
	v_mul_f32_dpp v101, v24, v101 row_newbcast:1 row_mask:0xf bank_mask:0xf// 0000000047E8: 0ACACAFA FF015118
	v_mul_f32_dpp v102, v24, v102 row_newbcast:2 row_mask:0xf bank_mask:0xf// 0000000047F0: 0ACCCCFA FF015218
	v_mul_f32_dpp v103, v24, v103 row_newbcast:3 row_mask:0xf bank_mask:0xf// 0000000047F8: 0ACECEFA FF015318
	v_cvt_f32_i32_e32 v104, v104                               // 000000004800: 7ED00B68
	v_cvt_f32_i32_e32 v105, v105                               // 000000004804: 7ED20B69
	v_cvt_f32_i32_e32 v106, v106                               // 000000004808: 7ED40B6A
	v_cvt_f32_i32_e32 v107, v107                               // 00000000480C: 7ED60B6B
	v_mul_f32_dpp v104, v24, v104 row_newbcast:0 row_mask:0xf bank_mask:0xf// 000000004810: 0AD0D0FA FF015018
	v_mul_f32_dpp v105, v24, v105 row_newbcast:1 row_mask:0xf bank_mask:0xf// 000000004818: 0AD2D2FA FF015118
	v_mul_f32_dpp v106, v24, v106 row_newbcast:2 row_mask:0xf bank_mask:0xf// 000000004820: 0AD4D4FA FF015218
	v_mul_f32_dpp v107, v24, v107 row_newbcast:3 row_mask:0xf bank_mask:0xf// 000000004828: 0AD6D6FA FF015318
	v_cvt_f32_i32_e32 v108, v108                               // 000000004830: 7ED80B6C
	v_cvt_f32_i32_e32 v109, v109                               // 000000004834: 7EDA0B6D
	v_cvt_f32_i32_e32 v110, v110                               // 000000004838: 7EDC0B6E
	v_cvt_f32_i32_e32 v111, v111                               // 00000000483C: 7EDE0B6F
	v_mul_f32_dpp v108, v24, v108 row_newbcast:0 row_mask:0xf bank_mask:0xf// 000000004840: 0AD8D8FA FF015018
	v_mul_f32_dpp v109, v24, v109 row_newbcast:1 row_mask:0xf bank_mask:0xf// 000000004848: 0ADADAFA FF015118
	v_mul_f32_dpp v110, v24, v110 row_newbcast:2 row_mask:0xf bank_mask:0xf// 000000004850: 0ADCDCFA FF015218
	v_mul_f32_dpp v111, v24, v111 row_newbcast:3 row_mask:0xf bank_mask:0xf// 000000004858: 0ADEDEFA FF015318
	v_cvt_f32_i32_e32 v112, v112                               // 000000004860: 7EE00B70
	v_cvt_f32_i32_e32 v113, v113                               // 000000004864: 7EE20B71
	v_cvt_f32_i32_e32 v114, v114                               // 000000004868: 7EE40B72
	v_cvt_f32_i32_e32 v115, v115                               // 00000000486C: 7EE60B73
	v_mul_f32_dpp v112, v24, v112 row_newbcast:0 row_mask:0xf bank_mask:0xf// 000000004870: 0AE0E0FA FF015018
	v_mul_f32_dpp v113, v24, v113 row_newbcast:1 row_mask:0xf bank_mask:0xf// 000000004878: 0AE2E2FA FF015118
	v_mul_f32_dpp v114, v24, v114 row_newbcast:2 row_mask:0xf bank_mask:0xf// 000000004880: 0AE4E4FA FF015218
	v_mul_f32_dpp v115, v24, v115 row_newbcast:3 row_mask:0xf bank_mask:0xf// 000000004888: 0AE6E6FA FF015318
	v_cvt_f32_i32_e32 v116, v116                               // 000000004890: 7EE80B74
	v_cvt_f32_i32_e32 v117, v117                               // 000000004894: 7EEA0B75
	v_cvt_f32_i32_e32 v118, v118                               // 000000004898: 7EEC0B76
	v_cvt_f32_i32_e32 v119, v119                               // 00000000489C: 7EEE0B77
	v_mul_f32_dpp v116, v24, v116 row_newbcast:0 row_mask:0xf bank_mask:0xf// 0000000048A0: 0AE8E8FA FF015018
	v_mul_f32_dpp v117, v24, v117 row_newbcast:1 row_mask:0xf bank_mask:0xf// 0000000048A8: 0AEAEAFA FF015118
	v_mul_f32_dpp v118, v24, v118 row_newbcast:2 row_mask:0xf bank_mask:0xf// 0000000048B0: 0AECECFA FF015218
	v_mul_f32_dpp v119, v24, v119 row_newbcast:3 row_mask:0xf bank_mask:0xf// 0000000048B8: 0AEEEEFA FF015318
	v_cvt_f32_i32_e32 v120, v120                               // 0000000048C0: 7EF00B78
	v_cvt_f32_i32_e32 v121, v121                               // 0000000048C4: 7EF20B79
	v_cvt_f32_i32_e32 v122, v122                               // 0000000048C8: 7EF40B7A
	v_cvt_f32_i32_e32 v123, v123                               // 0000000048CC: 7EF60B7B
	v_mul_f32_dpp v120, v24, v120 row_newbcast:4 row_mask:0xf bank_mask:0xf// 0000000048D0: 0AF0F0FA FF015418
	v_mul_f32_dpp v121, v24, v121 row_newbcast:5 row_mask:0xf bank_mask:0xf// 0000000048D8: 0AF2F2FA FF015518
	v_mul_f32_dpp v122, v24, v122 row_newbcast:6 row_mask:0xf bank_mask:0xf// 0000000048E0: 0AF4F4FA FF015618
	v_mul_f32_dpp v123, v24, v123 row_newbcast:7 row_mask:0xf bank_mask:0xf// 0000000048E8: 0AF6F6FA FF015718
	v_cvt_f32_i32_e32 v124, v124                               // 0000000048F0: 7EF80B7C
	v_cvt_f32_i32_e32 v125, v125                               // 0000000048F4: 7EFA0B7D
	v_cvt_f32_i32_e32 v126, v126                               // 0000000048F8: 7EFC0B7E
	v_cvt_f32_i32_e32 v127, v127                               // 0000000048FC: 7EFE0B7F
	v_mul_f32_dpp v124, v24, v124 row_newbcast:4 row_mask:0xf bank_mask:0xf// 000000004900: 0AF8F8FA FF015418
	v_mul_f32_dpp v125, v24, v125 row_newbcast:5 row_mask:0xf bank_mask:0xf// 000000004908: 0AFAFAFA FF015518
	v_mul_f32_dpp v126, v24, v126 row_newbcast:6 row_mask:0xf bank_mask:0xf// 000000004910: 0AFCFCFA FF015618
	v_mul_f32_dpp v127, v24, v127 row_newbcast:7 row_mask:0xf bank_mask:0xf// 000000004918: 0AFEFEFA FF015718
	v_cvt_f32_i32_e32 v128, v128                               // 000000004920: 7F000B80
	v_cvt_f32_i32_e32 v129, v129                               // 000000004924: 7F020B81
	v_cvt_f32_i32_e32 v130, v130                               // 000000004928: 7F040B82
	v_cvt_f32_i32_e32 v131, v131                               // 00000000492C: 7F060B83
	v_mul_f32_dpp v128, v24, v128 row_newbcast:4 row_mask:0xf bank_mask:0xf// 000000004930: 0B0100FA FF015418
	v_mul_f32_dpp v129, v24, v129 row_newbcast:5 row_mask:0xf bank_mask:0xf// 000000004938: 0B0302FA FF015518
	v_mul_f32_dpp v130, v24, v130 row_newbcast:6 row_mask:0xf bank_mask:0xf// 000000004940: 0B0504FA FF015618
	v_mul_f32_dpp v131, v24, v131 row_newbcast:7 row_mask:0xf bank_mask:0xf// 000000004948: 0B0706FA FF015718
	v_cvt_f32_i32_e32 v132, v132                               // 000000004950: 7F080B84
	v_cvt_f32_i32_e32 v133, v133                               // 000000004954: 7F0A0B85
	v_cvt_f32_i32_e32 v134, v134                               // 000000004958: 7F0C0B86
	v_cvt_f32_i32_e32 v135, v135                               // 00000000495C: 7F0E0B87
	v_mul_f32_dpp v132, v24, v132 row_newbcast:4 row_mask:0xf bank_mask:0xf// 000000004960: 0B0908FA FF015418
	v_mul_f32_dpp v133, v24, v133 row_newbcast:5 row_mask:0xf bank_mask:0xf// 000000004968: 0B0B0AFA FF015518
	v_mul_f32_dpp v134, v24, v134 row_newbcast:6 row_mask:0xf bank_mask:0xf// 000000004970: 0B0D0CFA FF015618
	v_mul_f32_dpp v135, v24, v135 row_newbcast:7 row_mask:0xf bank_mask:0xf// 000000004978: 0B0F0EFA FF015718
	v_cvt_f32_i32_e32 v136, v136                               // 000000004980: 7F100B88
	v_cvt_f32_i32_e32 v137, v137                               // 000000004984: 7F120B89
	v_cvt_f32_i32_e32 v138, v138                               // 000000004988: 7F140B8A
	v_cvt_f32_i32_e32 v139, v139                               // 00000000498C: 7F160B8B
	v_mul_f32_dpp v136, v24, v136 row_newbcast:4 row_mask:0xf bank_mask:0xf// 000000004990: 0B1110FA FF015418
	v_mul_f32_dpp v137, v24, v137 row_newbcast:5 row_mask:0xf bank_mask:0xf// 000000004998: 0B1312FA FF015518
	v_mul_f32_dpp v138, v24, v138 row_newbcast:6 row_mask:0xf bank_mask:0xf// 0000000049A0: 0B1514FA FF015618
	v_mul_f32_dpp v139, v24, v139 row_newbcast:7 row_mask:0xf bank_mask:0xf// 0000000049A8: 0B1716FA FF015718
	v_cvt_f32_i32_e32 v140, v140                               // 0000000049B0: 7F180B8C
	v_cvt_f32_i32_e32 v141, v141                               // 0000000049B4: 7F1A0B8D
	v_cvt_f32_i32_e32 v142, v142                               // 0000000049B8: 7F1C0B8E
	v_cvt_f32_i32_e32 v143, v143                               // 0000000049BC: 7F1E0B8F
	v_mul_f32_dpp v140, v24, v140 row_newbcast:4 row_mask:0xf bank_mask:0xf// 0000000049C0: 0B1918FA FF015418
	v_mul_f32_dpp v141, v24, v141 row_newbcast:5 row_mask:0xf bank_mask:0xf// 0000000049C8: 0B1B1AFA FF015518
	v_mul_f32_dpp v142, v24, v142 row_newbcast:6 row_mask:0xf bank_mask:0xf// 0000000049D0: 0B1D1CFA FF015618
	v_mul_f32_dpp v143, v24, v143 row_newbcast:7 row_mask:0xf bank_mask:0xf// 0000000049D8: 0B1F1EFA FF015718
	v_cvt_f32_i32_e32 v144, v144                               // 0000000049E0: 7F200B90
	v_cvt_f32_i32_e32 v145, v145                               // 0000000049E4: 7F220B91
	v_cvt_f32_i32_e32 v146, v146                               // 0000000049E8: 7F240B92
	v_cvt_f32_i32_e32 v147, v147                               // 0000000049EC: 7F260B93
	v_mul_f32_dpp v144, v24, v144 row_newbcast:4 row_mask:0xf bank_mask:0xf// 0000000049F0: 0B2120FA FF015418
	v_mul_f32_dpp v145, v24, v145 row_newbcast:5 row_mask:0xf bank_mask:0xf// 0000000049F8: 0B2322FA FF015518
	v_mul_f32_dpp v146, v24, v146 row_newbcast:6 row_mask:0xf bank_mask:0xf// 000000004A00: 0B2524FA FF015618
	v_mul_f32_dpp v147, v24, v147 row_newbcast:7 row_mask:0xf bank_mask:0xf// 000000004A08: 0B2726FA FF015718
	v_cvt_f32_i32_e32 v148, v148                               // 000000004A10: 7F280B94
	v_cvt_f32_i32_e32 v149, v149                               // 000000004A14: 7F2A0B95
	v_cvt_f32_i32_e32 v150, v150                               // 000000004A18: 7F2C0B96
	v_cvt_f32_i32_e32 v151, v151                               // 000000004A1C: 7F2E0B97
	v_mul_f32_dpp v148, v24, v148 row_newbcast:4 row_mask:0xf bank_mask:0xf// 000000004A20: 0B2928FA FF015418
	v_mul_f32_dpp v149, v24, v149 row_newbcast:5 row_mask:0xf bank_mask:0xf// 000000004A28: 0B2B2AFA FF015518
	v_mul_f32_dpp v150, v24, v150 row_newbcast:6 row_mask:0xf bank_mask:0xf// 000000004A30: 0B2D2CFA FF015618
	v_mul_f32_dpp v151, v24, v151 row_newbcast:7 row_mask:0xf bank_mask:0xf// 000000004A38: 0B2F2EFA FF015718
	v_cvt_f32_i32_e32 v152, v152                               // 000000004A40: 7F300B98
	v_cvt_f32_i32_e32 v153, v153                               // 000000004A44: 7F320B99
	v_cvt_f32_i32_e32 v154, v154                               // 000000004A48: 7F340B9A
	v_cvt_f32_i32_e32 v155, v155                               // 000000004A4C: 7F360B9B
	v_mul_f32_dpp v152, v24, v152 row_newbcast:4 row_mask:0xf bank_mask:0xf// 000000004A50: 0B3130FA FF015418
	v_mul_f32_dpp v153, v24, v153 row_newbcast:5 row_mask:0xf bank_mask:0xf// 000000004A58: 0B3332FA FF015518
	v_mul_f32_dpp v154, v24, v154 row_newbcast:6 row_mask:0xf bank_mask:0xf// 000000004A60: 0B3534FA FF015618
	v_mul_f32_dpp v155, v24, v155 row_newbcast:7 row_mask:0xf bank_mask:0xf// 000000004A68: 0B3736FA FF015718
	v_cvt_f32_i32_e32 v156, v156                               // 000000004A70: 7F380B9C
	v_cvt_f32_i32_e32 v157, v157                               // 000000004A74: 7F3A0B9D
	v_cvt_f32_i32_e32 v158, v158                               // 000000004A78: 7F3C0B9E
	v_cvt_f32_i32_e32 v159, v159                               // 000000004A7C: 7F3E0B9F
	v_mul_f32_dpp v156, v26, v156 row_newbcast:0 row_mask:0xf bank_mask:0xf// 000000004A80: 0B3938FA FF01501A
	v_mul_f32_dpp v157, v26, v157 row_newbcast:1 row_mask:0xf bank_mask:0xf// 000000004A88: 0B3B3AFA FF01511A
	v_mul_f32_dpp v158, v26, v158 row_newbcast:2 row_mask:0xf bank_mask:0xf// 000000004A90: 0B3D3CFA FF01521A
	v_mul_f32_dpp v159, v26, v159 row_newbcast:3 row_mask:0xf bank_mask:0xf// 000000004A98: 0B3F3EFA FF01531A
	v_cvt_f32_i32_e32 v160, v160                               // 000000004AA0: 7F400BA0
	v_cvt_f32_i32_e32 v161, v161                               // 000000004AA4: 7F420BA1
	v_cvt_f32_i32_e32 v162, v162                               // 000000004AA8: 7F440BA2
	v_cvt_f32_i32_e32 v163, v163                               // 000000004AAC: 7F460BA3
	v_mul_f32_dpp v160, v26, v160 row_newbcast:0 row_mask:0xf bank_mask:0xf// 000000004AB0: 0B4140FA FF01501A
	v_mul_f32_dpp v161, v26, v161 row_newbcast:1 row_mask:0xf bank_mask:0xf// 000000004AB8: 0B4342FA FF01511A
	v_mul_f32_dpp v162, v26, v162 row_newbcast:2 row_mask:0xf bank_mask:0xf// 000000004AC0: 0B4544FA FF01521A
	v_mul_f32_dpp v163, v26, v163 row_newbcast:3 row_mask:0xf bank_mask:0xf// 000000004AC8: 0B4746FA FF01531A
	v_cvt_f32_i32_e32 v164, v164                               // 000000004AD0: 7F480BA4
	v_cvt_f32_i32_e32 v165, v165                               // 000000004AD4: 7F4A0BA5
	v_cvt_f32_i32_e32 v166, v166                               // 000000004AD8: 7F4C0BA6
	v_cvt_f32_i32_e32 v167, v167                               // 000000004ADC: 7F4E0BA7
	v_mul_f32_dpp v164, v26, v164 row_newbcast:0 row_mask:0xf bank_mask:0xf// 000000004AE0: 0B4948FA FF01501A
	v_mul_f32_dpp v165, v26, v165 row_newbcast:1 row_mask:0xf bank_mask:0xf// 000000004AE8: 0B4B4AFA FF01511A
	v_mul_f32_dpp v166, v26, v166 row_newbcast:2 row_mask:0xf bank_mask:0xf// 000000004AF0: 0B4D4CFA FF01521A
	v_mul_f32_dpp v167, v26, v167 row_newbcast:3 row_mask:0xf bank_mask:0xf// 000000004AF8: 0B4F4EFA FF01531A
	v_cvt_f32_i32_e32 v168, v168                               // 000000004B00: 7F500BA8
	v_cvt_f32_i32_e32 v169, v169                               // 000000004B04: 7F520BA9
	v_cvt_f32_i32_e32 v170, v170                               // 000000004B08: 7F540BAA
	v_cvt_f32_i32_e32 v171, v171                               // 000000004B0C: 7F560BAB
	v_mul_f32_dpp v168, v26, v168 row_newbcast:0 row_mask:0xf bank_mask:0xf// 000000004B10: 0B5150FA FF01501A
	v_mul_f32_dpp v169, v26, v169 row_newbcast:1 row_mask:0xf bank_mask:0xf// 000000004B18: 0B5352FA FF01511A
	v_mul_f32_dpp v170, v26, v170 row_newbcast:2 row_mask:0xf bank_mask:0xf// 000000004B20: 0B5554FA FF01521A
	v_mul_f32_dpp v171, v26, v171 row_newbcast:3 row_mask:0xf bank_mask:0xf// 000000004B28: 0B5756FA FF01531A
	v_cvt_f32_i32_e32 v172, v172                               // 000000004B30: 7F580BAC
	v_cvt_f32_i32_e32 v173, v173                               // 000000004B34: 7F5A0BAD
	v_cvt_f32_i32_e32 v174, v174                               // 000000004B38: 7F5C0BAE
	v_cvt_f32_i32_e32 v175, v175                               // 000000004B3C: 7F5E0BAF
	v_mul_f32_dpp v172, v26, v172 row_newbcast:0 row_mask:0xf bank_mask:0xf// 000000004B40: 0B5958FA FF01501A
	v_mul_f32_dpp v173, v26, v173 row_newbcast:1 row_mask:0xf bank_mask:0xf// 000000004B48: 0B5B5AFA FF01511A
	v_mul_f32_dpp v174, v26, v174 row_newbcast:2 row_mask:0xf bank_mask:0xf// 000000004B50: 0B5D5CFA FF01521A
	v_mul_f32_dpp v175, v26, v175 row_newbcast:3 row_mask:0xf bank_mask:0xf// 000000004B58: 0B5F5EFA FF01531A
	v_cvt_f32_i32_e32 v176, v176                               // 000000004B60: 7F600BB0
	v_cvt_f32_i32_e32 v177, v177                               // 000000004B64: 7F620BB1
	v_cvt_f32_i32_e32 v178, v178                               // 000000004B68: 7F640BB2
	v_cvt_f32_i32_e32 v179, v179                               // 000000004B6C: 7F660BB3
	v_mul_f32_dpp v176, v26, v176 row_newbcast:0 row_mask:0xf bank_mask:0xf// 000000004B70: 0B6160FA FF01501A
	v_mul_f32_dpp v177, v26, v177 row_newbcast:1 row_mask:0xf bank_mask:0xf// 000000004B78: 0B6362FA FF01511A
	v_mul_f32_dpp v178, v26, v178 row_newbcast:2 row_mask:0xf bank_mask:0xf// 000000004B80: 0B6564FA FF01521A
	v_mul_f32_dpp v179, v26, v179 row_newbcast:3 row_mask:0xf bank_mask:0xf// 000000004B88: 0B6766FA FF01531A
	v_cvt_f32_i32_e32 v180, v180                               // 000000004B90: 7F680BB4
	v_cvt_f32_i32_e32 v181, v181                               // 000000004B94: 7F6A0BB5
	v_cvt_f32_i32_e32 v182, v182                               // 000000004B98: 7F6C0BB6
	v_cvt_f32_i32_e32 v183, v183                               // 000000004B9C: 7F6E0BB7
	v_mul_f32_dpp v180, v26, v180 row_newbcast:0 row_mask:0xf bank_mask:0xf// 000000004BA0: 0B6968FA FF01501A
	v_mul_f32_dpp v181, v26, v181 row_newbcast:1 row_mask:0xf bank_mask:0xf// 000000004BA8: 0B6B6AFA FF01511A
	v_mul_f32_dpp v182, v26, v182 row_newbcast:2 row_mask:0xf bank_mask:0xf// 000000004BB0: 0B6D6CFA FF01521A
	v_mul_f32_dpp v183, v26, v183 row_newbcast:3 row_mask:0xf bank_mask:0xf// 000000004BB8: 0B6F6EFA FF01531A
	v_cvt_f32_i32_e32 v184, v184                               // 000000004BC0: 7F700BB8
	v_cvt_f32_i32_e32 v185, v185                               // 000000004BC4: 7F720BB9
	v_cvt_f32_i32_e32 v186, v186                               // 000000004BC8: 7F740BBA
	v_cvt_f32_i32_e32 v187, v187                               // 000000004BCC: 7F760BBB
	v_mul_f32_dpp v184, v26, v184 row_newbcast:0 row_mask:0xf bank_mask:0xf// 000000004BD0: 0B7170FA FF01501A
	v_mul_f32_dpp v185, v26, v185 row_newbcast:1 row_mask:0xf bank_mask:0xf// 000000004BD8: 0B7372FA FF01511A
	v_mul_f32_dpp v186, v26, v186 row_newbcast:2 row_mask:0xf bank_mask:0xf// 000000004BE0: 0B7574FA FF01521A
	v_mul_f32_dpp v187, v26, v187 row_newbcast:3 row_mask:0xf bank_mask:0xf// 000000004BE8: 0B7776FA FF01531A
	v_cvt_f32_i32_e32 v188, v188                               // 000000004BF0: 7F780BBC
	v_cvt_f32_i32_e32 v189, v189                               // 000000004BF4: 7F7A0BBD
	v_cvt_f32_i32_e32 v190, v190                               // 000000004BF8: 7F7C0BBE
	v_cvt_f32_i32_e32 v191, v191                               // 000000004BFC: 7F7E0BBF
	v_mul_f32_dpp v188, v26, v188 row_newbcast:0 row_mask:0xf bank_mask:0xf// 000000004C00: 0B7978FA FF01501A
	v_mul_f32_dpp v189, v26, v189 row_newbcast:1 row_mask:0xf bank_mask:0xf// 000000004C08: 0B7B7AFA FF01511A
	v_mul_f32_dpp v190, v26, v190 row_newbcast:2 row_mask:0xf bank_mask:0xf// 000000004C10: 0B7D7CFA FF01521A
	v_mul_f32_dpp v191, v26, v191 row_newbcast:3 row_mask:0xf bank_mask:0xf// 000000004C18: 0B7F7EFA FF01531A
	v_cvt_f32_i32_e32 v192, v192                               // 000000004C20: 7F800BC0
	v_cvt_f32_i32_e32 v193, v193                               // 000000004C24: 7F820BC1
	v_cvt_f32_i32_e32 v194, v194                               // 000000004C28: 7F840BC2
	v_cvt_f32_i32_e32 v195, v195                               // 000000004C2C: 7F860BC3
	v_mul_f32_dpp v192, v26, v192 row_newbcast:4 row_mask:0xf bank_mask:0xf// 000000004C30: 0B8180FA FF01541A
	v_mul_f32_dpp v193, v26, v193 row_newbcast:5 row_mask:0xf bank_mask:0xf// 000000004C38: 0B8382FA FF01551A
	v_mul_f32_dpp v194, v26, v194 row_newbcast:6 row_mask:0xf bank_mask:0xf// 000000004C40: 0B8584FA FF01561A
	v_mul_f32_dpp v195, v26, v195 row_newbcast:7 row_mask:0xf bank_mask:0xf// 000000004C48: 0B8786FA FF01571A
	v_cvt_f32_i32_e32 v196, v196                               // 000000004C50: 7F880BC4
	v_cvt_f32_i32_e32 v197, v197                               // 000000004C54: 7F8A0BC5
	v_cvt_f32_i32_e32 v198, v198                               // 000000004C58: 7F8C0BC6
	v_cvt_f32_i32_e32 v199, v199                               // 000000004C5C: 7F8E0BC7
	v_mul_f32_dpp v196, v26, v196 row_newbcast:4 row_mask:0xf bank_mask:0xf// 000000004C60: 0B8988FA FF01541A
	v_mul_f32_dpp v197, v26, v197 row_newbcast:5 row_mask:0xf bank_mask:0xf// 000000004C68: 0B8B8AFA FF01551A
	v_mul_f32_dpp v198, v26, v198 row_newbcast:6 row_mask:0xf bank_mask:0xf// 000000004C70: 0B8D8CFA FF01561A
	v_mul_f32_dpp v199, v26, v199 row_newbcast:7 row_mask:0xf bank_mask:0xf// 000000004C78: 0B8F8EFA FF01571A
	v_cvt_f32_i32_e32 v200, v200                               // 000000004C80: 7F900BC8
	v_cvt_f32_i32_e32 v201, v201                               // 000000004C84: 7F920BC9
	v_cvt_f32_i32_e32 v202, v202                               // 000000004C88: 7F940BCA
	v_cvt_f32_i32_e32 v203, v203                               // 000000004C8C: 7F960BCB
	v_mul_f32_dpp v200, v26, v200 row_newbcast:4 row_mask:0xf bank_mask:0xf// 000000004C90: 0B9190FA FF01541A
	v_mul_f32_dpp v201, v26, v201 row_newbcast:5 row_mask:0xf bank_mask:0xf// 000000004C98: 0B9392FA FF01551A
	v_mul_f32_dpp v202, v26, v202 row_newbcast:6 row_mask:0xf bank_mask:0xf// 000000004CA0: 0B9594FA FF01561A
	v_mul_f32_dpp v203, v26, v203 row_newbcast:7 row_mask:0xf bank_mask:0xf// 000000004CA8: 0B9796FA FF01571A
	v_cvt_f32_i32_e32 v204, v204                               // 000000004CB0: 7F980BCC
	v_cvt_f32_i32_e32 v205, v205                               // 000000004CB4: 7F9A0BCD
	v_cvt_f32_i32_e32 v206, v206                               // 000000004CB8: 7F9C0BCE
	v_cvt_f32_i32_e32 v207, v207                               // 000000004CBC: 7F9E0BCF
	v_mul_f32_dpp v204, v26, v204 row_newbcast:4 row_mask:0xf bank_mask:0xf// 000000004CC0: 0B9998FA FF01541A
	v_mul_f32_dpp v205, v26, v205 row_newbcast:5 row_mask:0xf bank_mask:0xf// 000000004CC8: 0B9B9AFA FF01551A
	v_mul_f32_dpp v206, v26, v206 row_newbcast:6 row_mask:0xf bank_mask:0xf// 000000004CD0: 0B9D9CFA FF01561A
	v_mul_f32_dpp v207, v26, v207 row_newbcast:7 row_mask:0xf bank_mask:0xf// 000000004CD8: 0B9F9EFA FF01571A
	v_cvt_f32_i32_e32 v208, v208                               // 000000004CE0: 7FA00BD0
	v_cvt_f32_i32_e32 v209, v209                               // 000000004CE4: 7FA20BD1
	v_cvt_f32_i32_e32 v210, v210                               // 000000004CE8: 7FA40BD2
	v_cvt_f32_i32_e32 v211, v211                               // 000000004CEC: 7FA60BD3
	v_mul_f32_dpp v208, v26, v208 row_newbcast:4 row_mask:0xf bank_mask:0xf// 000000004CF0: 0BA1A0FA FF01541A
	v_mul_f32_dpp v209, v26, v209 row_newbcast:5 row_mask:0xf bank_mask:0xf// 000000004CF8: 0BA3A2FA FF01551A
	v_mul_f32_dpp v210, v26, v210 row_newbcast:6 row_mask:0xf bank_mask:0xf// 000000004D00: 0BA5A4FA FF01561A
	v_mul_f32_dpp v211, v26, v211 row_newbcast:7 row_mask:0xf bank_mask:0xf// 000000004D08: 0BA7A6FA FF01571A
	v_cvt_f32_i32_e32 v212, v212                               // 000000004D10: 7FA80BD4
	v_cvt_f32_i32_e32 v213, v213                               // 000000004D14: 7FAA0BD5
	v_cvt_f32_i32_e32 v214, v214                               // 000000004D18: 7FAC0BD6
	v_cvt_f32_i32_e32 v215, v215                               // 000000004D1C: 7FAE0BD7
	v_mul_f32_dpp v212, v26, v212 row_newbcast:4 row_mask:0xf bank_mask:0xf// 000000004D20: 0BA9A8FA FF01541A
	v_mul_f32_dpp v213, v26, v213 row_newbcast:5 row_mask:0xf bank_mask:0xf// 000000004D28: 0BABAAFA FF01551A
	v_mul_f32_dpp v214, v26, v214 row_newbcast:6 row_mask:0xf bank_mask:0xf// 000000004D30: 0BADACFA FF01561A
	v_mul_f32_dpp v215, v26, v215 row_newbcast:7 row_mask:0xf bank_mask:0xf// 000000004D38: 0BAFAEFA FF01571A
	v_cvt_f32_i32_e32 v216, v216                               // 000000004D40: 7FB00BD8
	v_cvt_f32_i32_e32 v217, v217                               // 000000004D44: 7FB20BD9
	v_cvt_f32_i32_e32 v218, v218                               // 000000004D48: 7FB40BDA
	v_cvt_f32_i32_e32 v219, v219                               // 000000004D4C: 7FB60BDB
	v_mul_f32_dpp v216, v26, v216 row_newbcast:4 row_mask:0xf bank_mask:0xf// 000000004D50: 0BB1B0FA FF01541A
	v_mul_f32_dpp v217, v26, v217 row_newbcast:5 row_mask:0xf bank_mask:0xf// 000000004D58: 0BB3B2FA FF01551A
	v_mul_f32_dpp v218, v26, v218 row_newbcast:6 row_mask:0xf bank_mask:0xf// 000000004D60: 0BB5B4FA FF01561A
	v_mul_f32_dpp v219, v26, v219 row_newbcast:7 row_mask:0xf bank_mask:0xf// 000000004D68: 0BB7B6FA FF01571A
	v_cvt_f32_i32_e32 v220, v220                               // 000000004D70: 7FB80BDC
	v_cvt_f32_i32_e32 v221, v221                               // 000000004D74: 7FBA0BDD
	v_cvt_f32_i32_e32 v222, v222                               // 000000004D78: 7FBC0BDE
	v_cvt_f32_i32_e32 v223, v223                               // 000000004D7C: 7FBE0BDF
	v_mul_f32_dpp v220, v26, v220 row_newbcast:4 row_mask:0xf bank_mask:0xf// 000000004D80: 0BB9B8FA FF01541A
	v_mul_f32_dpp v221, v26, v221 row_newbcast:5 row_mask:0xf bank_mask:0xf// 000000004D88: 0BBBBAFA FF01551A
	v_mul_f32_dpp v222, v26, v222 row_newbcast:6 row_mask:0xf bank_mask:0xf// 000000004D90: 0BBDBCFA FF01561A
	v_mul_f32_dpp v223, v26, v223 row_newbcast:7 row_mask:0xf bank_mask:0xf// 000000004D98: 0BBFBEFA FF01571A
	v_cvt_f32_i32_e32 v224, v224                               // 000000004DA0: 7FC00BE0
	v_cvt_f32_i32_e32 v225, v225                               // 000000004DA4: 7FC20BE1
	v_cvt_f32_i32_e32 v226, v226                               // 000000004DA8: 7FC40BE2
	v_cvt_f32_i32_e32 v227, v227                               // 000000004DAC: 7FC60BE3
	v_mul_f32_dpp v224, v26, v224 row_newbcast:4 row_mask:0xf bank_mask:0xf// 000000004DB0: 0BC1C0FA FF01541A
	v_mul_f32_dpp v225, v26, v225 row_newbcast:5 row_mask:0xf bank_mask:0xf// 000000004DB8: 0BC3C2FA FF01551A
	v_mul_f32_dpp v226, v26, v226 row_newbcast:6 row_mask:0xf bank_mask:0xf// 000000004DC0: 0BC5C4FA FF01561A
	v_mul_f32_dpp v227, v26, v227 row_newbcast:7 row_mask:0xf bank_mask:0xf// 000000004DC8: 0BC7C6FA FF01571A
	v_mov_b32_e32 v4, v37                                      // 000000004DD0: 7E080325
	v_mov_b32_e32 v5, v4                                       // 000000004DD4: 7E0A0304
	v_pk_mul_f32 v[84:85], v[4:5], v[84:85]                    // 000000004DD8: D3B14054 1802A904
	v_pk_mul_f32 v[156:157], v[4:5], v[156:157]                // 000000004DE0: D3B1409C 18033904
	v_pk_mul_f32 v[86:87], v[4:5], v[86:87]                    // 000000004DE8: D3B14056 1802AD04
	v_pk_mul_f32 v[158:159], v[4:5], v[158:159]                // 000000004DF0: D3B1409E 18033D04
	v_pk_mul_f32 v[120:121], v[4:5], v[120:121]                // 000000004DF8: D3B14078 1802F104
	v_pk_mul_f32 v[192:193], v[4:5], v[192:193]                // 000000004E00: D3B140C0 18038104
	v_pk_mul_f32 v[122:123], v[4:5], v[122:123]                // 000000004E08: D3B1407A 1802F504
	v_pk_mul_f32 v[194:195], v[4:5], v[194:195]                // 000000004E10: D3B140C2 18038504
	v_mov_b32_e32 v4, v38                                      // 000000004E18: 7E080326
	v_mov_b32_e32 v5, v4                                       // 000000004E1C: 7E0A0304
	v_pk_mul_f32 v[88:89], v[4:5], v[88:89]                    // 000000004E20: D3B14058 1802B104
	v_pk_mul_f32 v[160:161], v[4:5], v[160:161]                // 000000004E28: D3B140A0 18034104
	v_pk_mul_f32 v[90:91], v[4:5], v[90:91]                    // 000000004E30: D3B1405A 1802B504
	v_pk_mul_f32 v[162:163], v[4:5], v[162:163]                // 000000004E38: D3B140A2 18034504
	v_pk_mul_f32 v[124:125], v[4:5], v[124:125]                // 000000004E40: D3B1407C 1802F904
	v_pk_mul_f32 v[196:197], v[4:5], v[196:197]                // 000000004E48: D3B140C4 18038904
	v_pk_mul_f32 v[126:127], v[4:5], v[126:127]                // 000000004E50: D3B1407E 1802FD04
	v_pk_mul_f32 v[198:199], v[4:5], v[198:199]                // 000000004E58: D3B140C6 18038D04
	v_mov_b32_e32 v4, v39                                      // 000000004E60: 7E080327
	v_mov_b32_e32 v5, v4                                       // 000000004E64: 7E0A0304
	v_pk_mul_f32 v[92:93], v[4:5], v[92:93]                    // 000000004E68: D3B1405C 1802B904
	v_pk_mul_f32 v[164:165], v[4:5], v[164:165]                // 000000004E70: D3B140A4 18034904
	v_pk_mul_f32 v[94:95], v[4:5], v[94:95]                    // 000000004E78: D3B1405E 1802BD04
	v_pk_mul_f32 v[166:167], v[4:5], v[166:167]                // 000000004E80: D3B140A6 18034D04
	v_pk_mul_f32 v[128:129], v[4:5], v[128:129]                // 000000004E88: D3B14080 18030104
	v_pk_mul_f32 v[200:201], v[4:5], v[200:201]                // 000000004E90: D3B140C8 18039104
	v_pk_mul_f32 v[130:131], v[4:5], v[130:131]                // 000000004E98: D3B14082 18030504
	v_pk_mul_f32 v[202:203], v[4:5], v[202:203]                // 000000004EA0: D3B140CA 18039504
	v_mov_b32_e32 v4, v40                                      // 000000004EA8: 7E080328
	v_mov_b32_e32 v5, v4                                       // 000000004EAC: 7E0A0304
	v_pk_mul_f32 v[96:97], v[4:5], v[96:97]                    // 000000004EB0: D3B14060 1802C104
	v_pk_mul_f32 v[168:169], v[4:5], v[168:169]                // 000000004EB8: D3B140A8 18035104
	v_pk_mul_f32 v[98:99], v[4:5], v[98:99]                    // 000000004EC0: D3B14062 1802C504
	v_pk_mul_f32 v[170:171], v[4:5], v[170:171]                // 000000004EC8: D3B140AA 18035504
	v_pk_mul_f32 v[132:133], v[4:5], v[132:133]                // 000000004ED0: D3B14084 18030904
	v_pk_mul_f32 v[204:205], v[4:5], v[204:205]                // 000000004ED8: D3B140CC 18039904
	v_pk_mul_f32 v[134:135], v[4:5], v[134:135]                // 000000004EE0: D3B14086 18030D04
	v_pk_mul_f32 v[206:207], v[4:5], v[206:207]                // 000000004EE8: D3B140CE 18039D04
	v_mov_b32_e32 v4, v41                                      // 000000004EF0: 7E080329
	v_mov_b32_e32 v5, v4                                       // 000000004EF4: 7E0A0304
	v_pk_mul_f32 v[100:101], v[4:5], v[100:101]                // 000000004EF8: D3B14064 1802C904
	v_pk_mul_f32 v[172:173], v[4:5], v[172:173]                // 000000004F00: D3B140AC 18035904
	v_pk_mul_f32 v[102:103], v[4:5], v[102:103]                // 000000004F08: D3B14066 1802CD04
	v_pk_mul_f32 v[174:175], v[4:5], v[174:175]                // 000000004F10: D3B140AE 18035D04
	v_pk_mul_f32 v[136:137], v[4:5], v[136:137]                // 000000004F18: D3B14088 18031104
	v_pk_mul_f32 v[208:209], v[4:5], v[208:209]                // 000000004F20: D3B140D0 1803A104
	v_pk_mul_f32 v[138:139], v[4:5], v[138:139]                // 000000004F28: D3B1408A 18031504
	v_pk_mul_f32 v[210:211], v[4:5], v[210:211]                // 000000004F30: D3B140D2 1803A504
	v_mov_b32_e32 v4, v42                                      // 000000004F38: 7E08032A
	v_mov_b32_e32 v5, v4                                       // 000000004F3C: 7E0A0304
	v_pk_mul_f32 v[104:105], v[4:5], v[104:105]                // 000000004F40: D3B14068 1802D104
	v_pk_mul_f32 v[176:177], v[4:5], v[176:177]                // 000000004F48: D3B140B0 18036104
	v_pk_mul_f32 v[106:107], v[4:5], v[106:107]                // 000000004F50: D3B1406A 1802D504
	v_pk_mul_f32 v[178:179], v[4:5], v[178:179]                // 000000004F58: D3B140B2 18036504
	v_pk_mul_f32 v[140:141], v[4:5], v[140:141]                // 000000004F60: D3B1408C 18031904
	v_pk_mul_f32 v[212:213], v[4:5], v[212:213]                // 000000004F68: D3B140D4 1803A904
	v_pk_mul_f32 v[142:143], v[4:5], v[142:143]                // 000000004F70: D3B1408E 18031D04
	v_pk_mul_f32 v[214:215], v[4:5], v[214:215]                // 000000004F78: D3B140D6 1803AD04
	v_mov_b32_e32 v4, v43                                      // 000000004F80: 7E08032B
	v_mov_b32_e32 v5, v4                                       // 000000004F84: 7E0A0304
	v_pk_mul_f32 v[108:109], v[4:5], v[108:109]                // 000000004F88: D3B1406C 1802D904
	v_pk_mul_f32 v[180:181], v[4:5], v[180:181]                // 000000004F90: D3B140B4 18036904
	v_pk_mul_f32 v[110:111], v[4:5], v[110:111]                // 000000004F98: D3B1406E 1802DD04
	v_pk_mul_f32 v[182:183], v[4:5], v[182:183]                // 000000004FA0: D3B140B6 18036D04
	v_pk_mul_f32 v[144:145], v[4:5], v[144:145]                // 000000004FA8: D3B14090 18032104
	v_pk_mul_f32 v[216:217], v[4:5], v[216:217]                // 000000004FB0: D3B140D8 1803B104
	v_pk_mul_f32 v[146:147], v[4:5], v[146:147]                // 000000004FB8: D3B14092 18032504
	v_pk_mul_f32 v[218:219], v[4:5], v[218:219]                // 000000004FC0: D3B140DA 1803B504
	v_mov_b32_e32 v4, v44                                      // 000000004FC8: 7E08032C
	v_mov_b32_e32 v5, v4                                       // 000000004FCC: 7E0A0304
	v_pk_mul_f32 v[112:113], v[4:5], v[112:113]                // 000000004FD0: D3B14070 1802E104
	v_pk_mul_f32 v[184:185], v[4:5], v[184:185]                // 000000004FD8: D3B140B8 18037104
	v_pk_mul_f32 v[114:115], v[4:5], v[114:115]                // 000000004FE0: D3B14072 1802E504
	v_pk_mul_f32 v[186:187], v[4:5], v[186:187]                // 000000004FE8: D3B140BA 18037504
	v_pk_mul_f32 v[148:149], v[4:5], v[148:149]                // 000000004FF0: D3B14094 18032904
	v_pk_mul_f32 v[220:221], v[4:5], v[220:221]                // 000000004FF8: D3B140DC 1803B904
	v_pk_mul_f32 v[150:151], v[4:5], v[150:151]                // 000000005000: D3B14096 18032D04
	v_pk_mul_f32 v[222:223], v[4:5], v[222:223]                // 000000005008: D3B140DE 1803BD04
	v_mov_b32_e32 v4, v45                                      // 000000005010: 7E08032D
	v_mov_b32_e32 v5, v4                                       // 000000005014: 7E0A0304
	v_pk_mul_f32 v[116:117], v[4:5], v[116:117]                // 000000005018: D3B14074 1802E904
	v_pk_mul_f32 v[188:189], v[4:5], v[188:189]                // 000000005020: D3B140BC 18037904
	v_pk_mul_f32 v[118:119], v[4:5], v[118:119]                // 000000005028: D3B14076 1802ED04
	v_pk_mul_f32 v[190:191], v[4:5], v[190:191]                // 000000005030: D3B140BE 18037D04
	v_pk_mul_f32 v[152:153], v[4:5], v[152:153]                // 000000005038: D3B14098 18033104
	v_pk_mul_f32 v[224:225], v[4:5], v[224:225]                // 000000005040: D3B140E0 1803C104
	v_pk_mul_f32 v[154:155], v[4:5], v[154:155]                // 000000005048: D3B1409A 18033504
	v_pk_mul_f32 v[226:227], v[4:5], v[226:227]                // 000000005050: D3B140E2 1803C504
	s_cmp_eq_u32 s88, 0                                        // 000000005058: BF068058
	s_cbranch_scc0 label_1421                                  // 00000000505C: BF840A89
	s_cmp_eq_u32 s89, 0                                        // 000000005060: BF068059
	s_cbranch_scc1 label_0C6F                                  // 000000005064: BF8502D5
	v_mov_b32_e32 v8, v1                                       // 000000005068: 7E100301
	v_mov_b32_e32 v9, v1                                       // 00000000506C: 7E120301
	s_mov_b32 s60, s6                                          // 000000005070: BEBC0006
	s_mov_b32 s61, s6                                          // 000000005074: BEBD0006
	v_pk_mul_f32 v[4:5], v[84:85], v[84:85]                    // 000000005078: D3B14004 1802A954
	v_pk_mul_f32 v[6:7], v[86:87], v[86:87]                    // 000000005080: D3B14006 1802AD56
	v_pk_fma_f32 v[4:5], v[4:5], s[78:79], v[8:9]              // 000000005088: D3B04004 1C209D04
	v_pk_fma_f32 v[6:7], v[6:7], s[78:79], v[8:9]              // 000000005090: D3B04006 1C209D06
	v_pk_mul_f32 v[4:5], v[4:5], v[84:85]                      // 000000005098: D3B14004 1802A904
	v_pk_mul_f32 v[6:7], v[6:7], v[86:87]                      // 0000000050A0: D3B14006 1802AD06
	v_pk_mul_f32 v[4:5], v[4:5], s[60:61]                      // 0000000050A8: D3B14004 18007904
	v_pk_mul_f32 v[6:7], v[6:7], s[60:61]                      // 0000000050B0: D3B14006 18007906
	v_exp_f32_e32 v4, v4                                       // 0000000050B8: 7E084104
	v_exp_f32_e32 v5, v5                                       // 0000000050BC: 7E0A4105
	v_exp_f32_e32 v6, v6                                       // 0000000050C0: 7E0C4106
	v_exp_f32_e32 v7, v7                                       // 0000000050C4: 7E0E4107
	v_add_f32_e64 v4, v4, 1.0                                  // 0000000050C8: D1010004 0001E504
	v_add_f32_e64 v5, v5, 1.0                                  // 0000000050D0: D1010005 0001E505
	v_add_f32_e64 v6, v6, 1.0                                  // 0000000050D8: D1010006 0001E506
	v_add_f32_e64 v7, v7, 1.0                                  // 0000000050E0: D1010007 0001E507
	v_rcp_f32_e32 v4, v4                                       // 0000000050E8: 7E084504
	v_rcp_f32_e32 v5, v5                                       // 0000000050EC: 7E0A4505
	v_rcp_f32_e32 v6, v6                                       // 0000000050F0: 7E0C4506
	v_rcp_f32_e32 v7, v7                                       // 0000000050F4: 7E0E4507
	v_mul_f32_e32 v84, v84, v4                                 // 0000000050F8: 0AA80954
	v_mul_f32_e32 v85, v85, v5                                 // 0000000050FC: 0AAA0B55
	v_mul_f32_e32 v86, v86, v6                                 // 000000005100: 0AAC0D56
	v_mul_f32_e32 v87, v87, v7                                 // 000000005104: 0AAE0F57
	v_mul_f32_e32 v84, v84, v156                               // 000000005108: 0AA93954
	v_mul_f32_e32 v85, v85, v157                               // 00000000510C: 0AAB3B55
	v_mul_f32_e32 v86, v86, v158                               // 000000005110: 0AAD3D56
	v_mul_f32_e32 v87, v87, v159                               // 000000005114: 0AAF3F57
	v_pk_mul_f32 v[4:5], v[88:89], v[88:89]                    // 000000005118: D3B14004 1802B158
	v_pk_mul_f32 v[6:7], v[90:91], v[90:91]                    // 000000005120: D3B14006 1802B55A
	v_pk_fma_f32 v[4:5], v[4:5], s[78:79], v[8:9]              // 000000005128: D3B04004 1C209D04
	v_pk_fma_f32 v[6:7], v[6:7], s[78:79], v[8:9]              // 000000005130: D3B04006 1C209D06
	v_pk_mul_f32 v[4:5], v[4:5], v[88:89]                      // 000000005138: D3B14004 1802B104
	v_pk_mul_f32 v[6:7], v[6:7], v[90:91]                      // 000000005140: D3B14006 1802B506
	v_pk_mul_f32 v[4:5], v[4:5], s[60:61]                      // 000000005148: D3B14004 18007904
	v_pk_mul_f32 v[6:7], v[6:7], s[60:61]                      // 000000005150: D3B14006 18007906
	v_exp_f32_e32 v4, v4                                       // 000000005158: 7E084104
	v_exp_f32_e32 v5, v5                                       // 00000000515C: 7E0A4105
	v_exp_f32_e32 v6, v6                                       // 000000005160: 7E0C4106
	v_exp_f32_e32 v7, v7                                       // 000000005164: 7E0E4107
	v_add_f32_e64 v4, v4, 1.0                                  // 000000005168: D1010004 0001E504
	v_add_f32_e64 v5, v5, 1.0                                  // 000000005170: D1010005 0001E505
	v_add_f32_e64 v6, v6, 1.0                                  // 000000005178: D1010006 0001E506
	v_add_f32_e64 v7, v7, 1.0                                  // 000000005180: D1010007 0001E507
	v_rcp_f32_e32 v4, v4                                       // 000000005188: 7E084504
	v_rcp_f32_e32 v5, v5                                       // 00000000518C: 7E0A4505
	v_rcp_f32_e32 v6, v6                                       // 000000005190: 7E0C4506
	v_rcp_f32_e32 v7, v7                                       // 000000005194: 7E0E4507
	v_mul_f32_e32 v88, v88, v4                                 // 000000005198: 0AB00958
	v_mul_f32_e32 v89, v89, v5                                 // 00000000519C: 0AB20B59
	v_mul_f32_e32 v90, v90, v6                                 // 0000000051A0: 0AB40D5A
	v_mul_f32_e32 v91, v91, v7                                 // 0000000051A4: 0AB60F5B
	v_mul_f32_e32 v88, v88, v160                               // 0000000051A8: 0AB14158
	v_mul_f32_e32 v89, v89, v161                               // 0000000051AC: 0AB34359
	v_mul_f32_e32 v90, v90, v162                               // 0000000051B0: 0AB5455A
	v_mul_f32_e32 v91, v91, v163                               // 0000000051B4: 0AB7475B
	v_pk_mul_f32 v[4:5], v[92:93], v[92:93]                    // 0000000051B8: D3B14004 1802B95C
	v_pk_mul_f32 v[6:7], v[94:95], v[94:95]                    // 0000000051C0: D3B14006 1802BD5E
	v_pk_fma_f32 v[4:5], v[4:5], s[78:79], v[8:9]              // 0000000051C8: D3B04004 1C209D04
	v_pk_fma_f32 v[6:7], v[6:7], s[78:79], v[8:9]              // 0000000051D0: D3B04006 1C209D06
	v_pk_mul_f32 v[4:5], v[4:5], v[92:93]                      // 0000000051D8: D3B14004 1802B904
	v_pk_mul_f32 v[6:7], v[6:7], v[94:95]                      // 0000000051E0: D3B14006 1802BD06
	v_pk_mul_f32 v[4:5], v[4:5], s[60:61]                      // 0000000051E8: D3B14004 18007904
	v_pk_mul_f32 v[6:7], v[6:7], s[60:61]                      // 0000000051F0: D3B14006 18007906
	v_exp_f32_e32 v4, v4                                       // 0000000051F8: 7E084104
	v_exp_f32_e32 v5, v5                                       // 0000000051FC: 7E0A4105
	v_exp_f32_e32 v6, v6                                       // 000000005200: 7E0C4106
	v_exp_f32_e32 v7, v7                                       // 000000005204: 7E0E4107
	v_add_f32_e64 v4, v4, 1.0                                  // 000000005208: D1010004 0001E504
	v_add_f32_e64 v5, v5, 1.0                                  // 000000005210: D1010005 0001E505
	v_add_f32_e64 v6, v6, 1.0                                  // 000000005218: D1010006 0001E506
	v_add_f32_e64 v7, v7, 1.0                                  // 000000005220: D1010007 0001E507
	v_rcp_f32_e32 v4, v4                                       // 000000005228: 7E084504
	v_rcp_f32_e32 v5, v5                                       // 00000000522C: 7E0A4505
	v_rcp_f32_e32 v6, v6                                       // 000000005230: 7E0C4506
	v_rcp_f32_e32 v7, v7                                       // 000000005234: 7E0E4507
	v_mul_f32_e32 v92, v92, v4                                 // 000000005238: 0AB8095C
	v_mul_f32_e32 v93, v93, v5                                 // 00000000523C: 0ABA0B5D
	v_mul_f32_e32 v94, v94, v6                                 // 000000005240: 0ABC0D5E
	v_mul_f32_e32 v95, v95, v7                                 // 000000005244: 0ABE0F5F
	v_mul_f32_e32 v92, v92, v164                               // 000000005248: 0AB9495C
	v_mul_f32_e32 v93, v93, v165                               // 00000000524C: 0ABB4B5D
	v_mul_f32_e32 v94, v94, v166                               // 000000005250: 0ABD4D5E
	v_mul_f32_e32 v95, v95, v167                               // 000000005254: 0ABF4F5F
	v_pk_mul_f32 v[4:5], v[96:97], v[96:97]                    // 000000005258: D3B14004 1802C160
	v_pk_mul_f32 v[6:7], v[98:99], v[98:99]                    // 000000005260: D3B14006 1802C562
	v_pk_fma_f32 v[4:5], v[4:5], s[78:79], v[8:9]              // 000000005268: D3B04004 1C209D04
	v_pk_fma_f32 v[6:7], v[6:7], s[78:79], v[8:9]              // 000000005270: D3B04006 1C209D06
	v_pk_mul_f32 v[4:5], v[4:5], v[96:97]                      // 000000005278: D3B14004 1802C104
	v_pk_mul_f32 v[6:7], v[6:7], v[98:99]                      // 000000005280: D3B14006 1802C506
	v_pk_mul_f32 v[4:5], v[4:5], s[60:61]                      // 000000005288: D3B14004 18007904
	v_pk_mul_f32 v[6:7], v[6:7], s[60:61]                      // 000000005290: D3B14006 18007906
	v_exp_f32_e32 v4, v4                                       // 000000005298: 7E084104
	v_exp_f32_e32 v5, v5                                       // 00000000529C: 7E0A4105
	v_exp_f32_e32 v6, v6                                       // 0000000052A0: 7E0C4106
	v_exp_f32_e32 v7, v7                                       // 0000000052A4: 7E0E4107
	v_add_f32_e64 v4, v4, 1.0                                  // 0000000052A8: D1010004 0001E504
	v_add_f32_e64 v5, v5, 1.0                                  // 0000000052B0: D1010005 0001E505
	v_add_f32_e64 v6, v6, 1.0                                  // 0000000052B8: D1010006 0001E506
	v_add_f32_e64 v7, v7, 1.0                                  // 0000000052C0: D1010007 0001E507
	v_rcp_f32_e32 v4, v4                                       // 0000000052C8: 7E084504
	v_rcp_f32_e32 v5, v5                                       // 0000000052CC: 7E0A4505
	v_rcp_f32_e32 v6, v6                                       // 0000000052D0: 7E0C4506
	v_rcp_f32_e32 v7, v7                                       // 0000000052D4: 7E0E4507
	v_mul_f32_e32 v96, v96, v4                                 // 0000000052D8: 0AC00960
	v_mul_f32_e32 v97, v97, v5                                 // 0000000052DC: 0AC20B61
	v_mul_f32_e32 v98, v98, v6                                 // 0000000052E0: 0AC40D62
	v_mul_f32_e32 v99, v99, v7                                 // 0000000052E4: 0AC60F63
	v_mul_f32_e32 v96, v96, v168                               // 0000000052E8: 0AC15160
	v_mul_f32_e32 v97, v97, v169                               // 0000000052EC: 0AC35361
	v_mul_f32_e32 v98, v98, v170                               // 0000000052F0: 0AC55562
	v_mul_f32_e32 v99, v99, v171                               // 0000000052F4: 0AC75763
	v_pk_mul_f32 v[4:5], v[100:101], v[100:101]                // 0000000052F8: D3B14004 1802C964
	v_pk_mul_f32 v[6:7], v[102:103], v[102:103]                // 000000005300: D3B14006 1802CD66
	v_pk_fma_f32 v[4:5], v[4:5], s[78:79], v[8:9]              // 000000005308: D3B04004 1C209D04
	v_pk_fma_f32 v[6:7], v[6:7], s[78:79], v[8:9]              // 000000005310: D3B04006 1C209D06
	v_pk_mul_f32 v[4:5], v[4:5], v[100:101]                    // 000000005318: D3B14004 1802C904
	v_pk_mul_f32 v[6:7], v[6:7], v[102:103]                    // 000000005320: D3B14006 1802CD06
	v_pk_mul_f32 v[4:5], v[4:5], s[60:61]                      // 000000005328: D3B14004 18007904
	v_pk_mul_f32 v[6:7], v[6:7], s[60:61]                      // 000000005330: D3B14006 18007906
	v_exp_f32_e32 v4, v4                                       // 000000005338: 7E084104
	v_exp_f32_e32 v5, v5                                       // 00000000533C: 7E0A4105
	v_exp_f32_e32 v6, v6                                       // 000000005340: 7E0C4106
	v_exp_f32_e32 v7, v7                                       // 000000005344: 7E0E4107
	v_add_f32_e64 v4, v4, 1.0                                  // 000000005348: D1010004 0001E504
	v_add_f32_e64 v5, v5, 1.0                                  // 000000005350: D1010005 0001E505
	v_add_f32_e64 v6, v6, 1.0                                  // 000000005358: D1010006 0001E506
	v_add_f32_e64 v7, v7, 1.0                                  // 000000005360: D1010007 0001E507
	v_rcp_f32_e32 v4, v4                                       // 000000005368: 7E084504
	v_rcp_f32_e32 v5, v5                                       // 00000000536C: 7E0A4505
	v_rcp_f32_e32 v6, v6                                       // 000000005370: 7E0C4506
	v_rcp_f32_e32 v7, v7                                       // 000000005374: 7E0E4507
	v_mul_f32_e32 v100, v100, v4                               // 000000005378: 0AC80964
	v_mul_f32_e32 v101, v101, v5                               // 00000000537C: 0ACA0B65
	v_mul_f32_e32 v102, v102, v6                               // 000000005380: 0ACC0D66
	v_mul_f32_e32 v103, v103, v7                               // 000000005384: 0ACE0F67
	v_mul_f32_e32 v100, v100, v172                             // 000000005388: 0AC95964
	v_mul_f32_e32 v101, v101, v173                             // 00000000538C: 0ACB5B65
	v_mul_f32_e32 v102, v102, v174                             // 000000005390: 0ACD5D66
	v_mul_f32_e32 v103, v103, v175                             // 000000005394: 0ACF5F67
	v_pk_mul_f32 v[4:5], v[104:105], v[104:105]                // 000000005398: D3B14004 1802D168
	v_pk_mul_f32 v[6:7], v[106:107], v[106:107]                // 0000000053A0: D3B14006 1802D56A
	v_pk_fma_f32 v[4:5], v[4:5], s[78:79], v[8:9]              // 0000000053A8: D3B04004 1C209D04
	v_pk_fma_f32 v[6:7], v[6:7], s[78:79], v[8:9]              // 0000000053B0: D3B04006 1C209D06
	v_pk_mul_f32 v[4:5], v[4:5], v[104:105]                    // 0000000053B8: D3B14004 1802D104
	v_pk_mul_f32 v[6:7], v[6:7], v[106:107]                    // 0000000053C0: D3B14006 1802D506
	v_pk_mul_f32 v[4:5], v[4:5], s[60:61]                      // 0000000053C8: D3B14004 18007904
	v_pk_mul_f32 v[6:7], v[6:7], s[60:61]                      // 0000000053D0: D3B14006 18007906
	v_exp_f32_e32 v4, v4                                       // 0000000053D8: 7E084104
	v_exp_f32_e32 v5, v5                                       // 0000000053DC: 7E0A4105
	v_exp_f32_e32 v6, v6                                       // 0000000053E0: 7E0C4106
	v_exp_f32_e32 v7, v7                                       // 0000000053E4: 7E0E4107
	v_add_f32_e64 v4, v4, 1.0                                  // 0000000053E8: D1010004 0001E504
	v_add_f32_e64 v5, v5, 1.0                                  // 0000000053F0: D1010005 0001E505
	v_add_f32_e64 v6, v6, 1.0                                  // 0000000053F8: D1010006 0001E506
	v_add_f32_e64 v7, v7, 1.0                                  // 000000005400: D1010007 0001E507
	v_rcp_f32_e32 v4, v4                                       // 000000005408: 7E084504
	v_rcp_f32_e32 v5, v5                                       // 00000000540C: 7E0A4505
	v_rcp_f32_e32 v6, v6                                       // 000000005410: 7E0C4506
	v_rcp_f32_e32 v7, v7                                       // 000000005414: 7E0E4507
	v_mul_f32_e32 v104, v104, v4                               // 000000005418: 0AD00968
	v_mul_f32_e32 v105, v105, v5                               // 00000000541C: 0AD20B69
	v_mul_f32_e32 v106, v106, v6                               // 000000005420: 0AD40D6A
	v_mul_f32_e32 v107, v107, v7                               // 000000005424: 0AD60F6B
	v_mul_f32_e32 v104, v104, v176                             // 000000005428: 0AD16168
	v_mul_f32_e32 v105, v105, v177                             // 00000000542C: 0AD36369
	v_mul_f32_e32 v106, v106, v178                             // 000000005430: 0AD5656A
	v_mul_f32_e32 v107, v107, v179                             // 000000005434: 0AD7676B
	v_pk_mul_f32 v[4:5], v[108:109], v[108:109]                // 000000005438: D3B14004 1802D96C
	v_pk_mul_f32 v[6:7], v[110:111], v[110:111]                // 000000005440: D3B14006 1802DD6E
	v_pk_fma_f32 v[4:5], v[4:5], s[78:79], v[8:9]              // 000000005448: D3B04004 1C209D04
	v_pk_fma_f32 v[6:7], v[6:7], s[78:79], v[8:9]              // 000000005450: D3B04006 1C209D06
	v_pk_mul_f32 v[4:5], v[4:5], v[108:109]                    // 000000005458: D3B14004 1802D904
	v_pk_mul_f32 v[6:7], v[6:7], v[110:111]                    // 000000005460: D3B14006 1802DD06
	v_pk_mul_f32 v[4:5], v[4:5], s[60:61]                      // 000000005468: D3B14004 18007904
	v_pk_mul_f32 v[6:7], v[6:7], s[60:61]                      // 000000005470: D3B14006 18007906
	v_exp_f32_e32 v4, v4                                       // 000000005478: 7E084104
	v_exp_f32_e32 v5, v5                                       // 00000000547C: 7E0A4105
	v_exp_f32_e32 v6, v6                                       // 000000005480: 7E0C4106
	v_exp_f32_e32 v7, v7                                       // 000000005484: 7E0E4107
	v_add_f32_e64 v4, v4, 1.0                                  // 000000005488: D1010004 0001E504
	v_add_f32_e64 v5, v5, 1.0                                  // 000000005490: D1010005 0001E505
	v_add_f32_e64 v6, v6, 1.0                                  // 000000005498: D1010006 0001E506
	v_add_f32_e64 v7, v7, 1.0                                  // 0000000054A0: D1010007 0001E507
	v_rcp_f32_e32 v4, v4                                       // 0000000054A8: 7E084504
	v_rcp_f32_e32 v5, v5                                       // 0000000054AC: 7E0A4505
	v_rcp_f32_e32 v6, v6                                       // 0000000054B0: 7E0C4506
	v_rcp_f32_e32 v7, v7                                       // 0000000054B4: 7E0E4507
	v_mul_f32_e32 v108, v108, v4                               // 0000000054B8: 0AD8096C
	v_mul_f32_e32 v109, v109, v5                               // 0000000054BC: 0ADA0B6D
	v_mul_f32_e32 v110, v110, v6                               // 0000000054C0: 0ADC0D6E
	v_mul_f32_e32 v111, v111, v7                               // 0000000054C4: 0ADE0F6F
	v_mul_f32_e32 v108, v108, v180                             // 0000000054C8: 0AD9696C
	v_mul_f32_e32 v109, v109, v181                             // 0000000054CC: 0ADB6B6D
	v_mul_f32_e32 v110, v110, v182                             // 0000000054D0: 0ADD6D6E
	v_mul_f32_e32 v111, v111, v183                             // 0000000054D4: 0ADF6F6F
	v_pk_mul_f32 v[4:5], v[112:113], v[112:113]                // 0000000054D8: D3B14004 1802E170
	v_pk_mul_f32 v[6:7], v[114:115], v[114:115]                // 0000000054E0: D3B14006 1802E572
	v_pk_fma_f32 v[4:5], v[4:5], s[78:79], v[8:9]              // 0000000054E8: D3B04004 1C209D04
	v_pk_fma_f32 v[6:7], v[6:7], s[78:79], v[8:9]              // 0000000054F0: D3B04006 1C209D06
	v_pk_mul_f32 v[4:5], v[4:5], v[112:113]                    // 0000000054F8: D3B14004 1802E104
	v_pk_mul_f32 v[6:7], v[6:7], v[114:115]                    // 000000005500: D3B14006 1802E506
	v_pk_mul_f32 v[4:5], v[4:5], s[60:61]                      // 000000005508: D3B14004 18007904
	v_pk_mul_f32 v[6:7], v[6:7], s[60:61]                      // 000000005510: D3B14006 18007906
	v_exp_f32_e32 v4, v4                                       // 000000005518: 7E084104
	v_exp_f32_e32 v5, v5                                       // 00000000551C: 7E0A4105
	v_exp_f32_e32 v6, v6                                       // 000000005520: 7E0C4106
	v_exp_f32_e32 v7, v7                                       // 000000005524: 7E0E4107
	v_add_f32_e64 v4, v4, 1.0                                  // 000000005528: D1010004 0001E504
	v_add_f32_e64 v5, v5, 1.0                                  // 000000005530: D1010005 0001E505
	v_add_f32_e64 v6, v6, 1.0                                  // 000000005538: D1010006 0001E506
	v_add_f32_e64 v7, v7, 1.0                                  // 000000005540: D1010007 0001E507
	v_rcp_f32_e32 v4, v4                                       // 000000005548: 7E084504
	v_rcp_f32_e32 v5, v5                                       // 00000000554C: 7E0A4505
	v_rcp_f32_e32 v6, v6                                       // 000000005550: 7E0C4506
	v_rcp_f32_e32 v7, v7                                       // 000000005554: 7E0E4507
	v_mul_f32_e32 v112, v112, v4                               // 000000005558: 0AE00970
	v_mul_f32_e32 v113, v113, v5                               // 00000000555C: 0AE20B71
	v_mul_f32_e32 v114, v114, v6                               // 000000005560: 0AE40D72
	v_mul_f32_e32 v115, v115, v7                               // 000000005564: 0AE60F73
	v_mul_f32_e32 v112, v112, v184                             // 000000005568: 0AE17170
	v_mul_f32_e32 v113, v113, v185                             // 00000000556C: 0AE37371
	v_mul_f32_e32 v114, v114, v186                             // 000000005570: 0AE57572
	v_mul_f32_e32 v115, v115, v187                             // 000000005574: 0AE77773
	v_pk_mul_f32 v[4:5], v[116:117], v[116:117]                // 000000005578: D3B14004 1802E974
	v_pk_mul_f32 v[6:7], v[118:119], v[118:119]                // 000000005580: D3B14006 1802ED76
	v_pk_fma_f32 v[4:5], v[4:5], s[78:79], v[8:9]              // 000000005588: D3B04004 1C209D04
	v_pk_fma_f32 v[6:7], v[6:7], s[78:79], v[8:9]              // 000000005590: D3B04006 1C209D06
	v_pk_mul_f32 v[4:5], v[4:5], v[116:117]                    // 000000005598: D3B14004 1802E904
	v_pk_mul_f32 v[6:7], v[6:7], v[118:119]                    // 0000000055A0: D3B14006 1802ED06
	v_pk_mul_f32 v[4:5], v[4:5], s[60:61]                      // 0000000055A8: D3B14004 18007904
	v_pk_mul_f32 v[6:7], v[6:7], s[60:61]                      // 0000000055B0: D3B14006 18007906
	v_exp_f32_e32 v4, v4                                       // 0000000055B8: 7E084104
	v_exp_f32_e32 v5, v5                                       // 0000000055BC: 7E0A4105
	v_exp_f32_e32 v6, v6                                       // 0000000055C0: 7E0C4106
	v_exp_f32_e32 v7, v7                                       // 0000000055C4: 7E0E4107
	v_add_f32_e64 v4, v4, 1.0                                  // 0000000055C8: D1010004 0001E504
	v_add_f32_e64 v5, v5, 1.0                                  // 0000000055D0: D1010005 0001E505
	v_add_f32_e64 v6, v6, 1.0                                  // 0000000055D8: D1010006 0001E506
	v_add_f32_e64 v7, v7, 1.0                                  // 0000000055E0: D1010007 0001E507
	v_rcp_f32_e32 v4, v4                                       // 0000000055E8: 7E084504
	v_rcp_f32_e32 v5, v5                                       // 0000000055EC: 7E0A4505
	v_rcp_f32_e32 v6, v6                                       // 0000000055F0: 7E0C4506
	v_rcp_f32_e32 v7, v7                                       // 0000000055F4: 7E0E4507
	v_mul_f32_e32 v116, v116, v4                               // 0000000055F8: 0AE80974
	v_mul_f32_e32 v117, v117, v5                               // 0000000055FC: 0AEA0B75
	v_mul_f32_e32 v118, v118, v6                               // 000000005600: 0AEC0D76
	v_mul_f32_e32 v119, v119, v7                               // 000000005604: 0AEE0F77
	v_mul_f32_e32 v116, v116, v188                             // 000000005608: 0AE97974
	v_mul_f32_e32 v117, v117, v189                             // 00000000560C: 0AEB7B75
	v_mul_f32_e32 v118, v118, v190                             // 000000005610: 0AED7D76
	v_mul_f32_e32 v119, v119, v191                             // 000000005614: 0AEF7F77
	v_pk_mul_f32 v[4:5], v[120:121], v[120:121]                // 000000005618: D3B14004 1802F178
	v_pk_mul_f32 v[6:7], v[122:123], v[122:123]                // 000000005620: D3B14006 1802F57A
	v_pk_fma_f32 v[4:5], v[4:5], s[78:79], v[8:9]              // 000000005628: D3B04004 1C209D04
	v_pk_fma_f32 v[6:7], v[6:7], s[78:79], v[8:9]              // 000000005630: D3B04006 1C209D06
	v_pk_mul_f32 v[4:5], v[4:5], v[120:121]                    // 000000005638: D3B14004 1802F104
	v_pk_mul_f32 v[6:7], v[6:7], v[122:123]                    // 000000005640: D3B14006 1802F506
	v_pk_mul_f32 v[4:5], v[4:5], s[60:61]                      // 000000005648: D3B14004 18007904
	v_pk_mul_f32 v[6:7], v[6:7], s[60:61]                      // 000000005650: D3B14006 18007906
	v_exp_f32_e32 v4, v4                                       // 000000005658: 7E084104
	v_exp_f32_e32 v5, v5                                       // 00000000565C: 7E0A4105
	v_exp_f32_e32 v6, v6                                       // 000000005660: 7E0C4106
	v_exp_f32_e32 v7, v7                                       // 000000005664: 7E0E4107
	v_add_f32_e64 v4, v4, 1.0                                  // 000000005668: D1010004 0001E504
	v_add_f32_e64 v5, v5, 1.0                                  // 000000005670: D1010005 0001E505
	v_add_f32_e64 v6, v6, 1.0                                  // 000000005678: D1010006 0001E506
	v_add_f32_e64 v7, v7, 1.0                                  // 000000005680: D1010007 0001E507
	v_rcp_f32_e32 v4, v4                                       // 000000005688: 7E084504
	v_rcp_f32_e32 v5, v5                                       // 00000000568C: 7E0A4505
	v_rcp_f32_e32 v6, v6                                       // 000000005690: 7E0C4506
	v_rcp_f32_e32 v7, v7                                       // 000000005694: 7E0E4507
	v_mul_f32_e32 v120, v120, v4                               // 000000005698: 0AF00978
	v_mul_f32_e32 v121, v121, v5                               // 00000000569C: 0AF20B79
	v_mul_f32_e32 v122, v122, v6                               // 0000000056A0: 0AF40D7A
	v_mul_f32_e32 v123, v123, v7                               // 0000000056A4: 0AF60F7B
	v_mul_f32_e32 v120, v120, v192                             // 0000000056A8: 0AF18178
	v_mul_f32_e32 v121, v121, v193                             // 0000000056AC: 0AF38379
	v_mul_f32_e32 v122, v122, v194                             // 0000000056B0: 0AF5857A
	v_mul_f32_e32 v123, v123, v195                             // 0000000056B4: 0AF7877B
	v_pk_mul_f32 v[4:5], v[124:125], v[124:125]                // 0000000056B8: D3B14004 1802F97C
	v_pk_mul_f32 v[6:7], v[126:127], v[126:127]                // 0000000056C0: D3B14006 1802FD7E
	v_pk_fma_f32 v[4:5], v[4:5], s[78:79], v[8:9]              // 0000000056C8: D3B04004 1C209D04
	v_pk_fma_f32 v[6:7], v[6:7], s[78:79], v[8:9]              // 0000000056D0: D3B04006 1C209D06
	v_pk_mul_f32 v[4:5], v[4:5], v[124:125]                    // 0000000056D8: D3B14004 1802F904
	v_pk_mul_f32 v[6:7], v[6:7], v[126:127]                    // 0000000056E0: D3B14006 1802FD06
	v_pk_mul_f32 v[4:5], v[4:5], s[60:61]                      // 0000000056E8: D3B14004 18007904
	v_pk_mul_f32 v[6:7], v[6:7], s[60:61]                      // 0000000056F0: D3B14006 18007906
	v_exp_f32_e32 v4, v4                                       // 0000000056F8: 7E084104
	v_exp_f32_e32 v5, v5                                       // 0000000056FC: 7E0A4105
	v_exp_f32_e32 v6, v6                                       // 000000005700: 7E0C4106
	v_exp_f32_e32 v7, v7                                       // 000000005704: 7E0E4107
	v_add_f32_e64 v4, v4, 1.0                                  // 000000005708: D1010004 0001E504
	v_add_f32_e64 v5, v5, 1.0                                  // 000000005710: D1010005 0001E505
	v_add_f32_e64 v6, v6, 1.0                                  // 000000005718: D1010006 0001E506
	v_add_f32_e64 v7, v7, 1.0                                  // 000000005720: D1010007 0001E507
	v_rcp_f32_e32 v4, v4                                       // 000000005728: 7E084504
	v_rcp_f32_e32 v5, v5                                       // 00000000572C: 7E0A4505
	v_rcp_f32_e32 v6, v6                                       // 000000005730: 7E0C4506
	v_rcp_f32_e32 v7, v7                                       // 000000005734: 7E0E4507
	v_mul_f32_e32 v124, v124, v4                               // 000000005738: 0AF8097C
	v_mul_f32_e32 v125, v125, v5                               // 00000000573C: 0AFA0B7D
	v_mul_f32_e32 v126, v126, v6                               // 000000005740: 0AFC0D7E
	v_mul_f32_e32 v127, v127, v7                               // 000000005744: 0AFE0F7F
	v_mul_f32_e32 v124, v124, v196                             // 000000005748: 0AF9897C
	v_mul_f32_e32 v125, v125, v197                             // 00000000574C: 0AFB8B7D
	v_mul_f32_e32 v126, v126, v198                             // 000000005750: 0AFD8D7E
	v_mul_f32_e32 v127, v127, v199                             // 000000005754: 0AFF8F7F
	v_pk_mul_f32 v[4:5], v[128:129], v[128:129]                // 000000005758: D3B14004 18030180
	v_pk_mul_f32 v[6:7], v[130:131], v[130:131]                // 000000005760: D3B14006 18030582
	v_pk_fma_f32 v[4:5], v[4:5], s[78:79], v[8:9]              // 000000005768: D3B04004 1C209D04
	v_pk_fma_f32 v[6:7], v[6:7], s[78:79], v[8:9]              // 000000005770: D3B04006 1C209D06
	v_pk_mul_f32 v[4:5], v[4:5], v[128:129]                    // 000000005778: D3B14004 18030104
	v_pk_mul_f32 v[6:7], v[6:7], v[130:131]                    // 000000005780: D3B14006 18030506
	v_pk_mul_f32 v[4:5], v[4:5], s[60:61]                      // 000000005788: D3B14004 18007904
	v_pk_mul_f32 v[6:7], v[6:7], s[60:61]                      // 000000005790: D3B14006 18007906
	v_exp_f32_e32 v4, v4                                       // 000000005798: 7E084104
	v_exp_f32_e32 v5, v5                                       // 00000000579C: 7E0A4105
	v_exp_f32_e32 v6, v6                                       // 0000000057A0: 7E0C4106
	v_exp_f32_e32 v7, v7                                       // 0000000057A4: 7E0E4107
	v_add_f32_e64 v4, v4, 1.0                                  // 0000000057A8: D1010004 0001E504
	v_add_f32_e64 v5, v5, 1.0                                  // 0000000057B0: D1010005 0001E505
	v_add_f32_e64 v6, v6, 1.0                                  // 0000000057B8: D1010006 0001E506
	v_add_f32_e64 v7, v7, 1.0                                  // 0000000057C0: D1010007 0001E507
	v_rcp_f32_e32 v4, v4                                       // 0000000057C8: 7E084504
	v_rcp_f32_e32 v5, v5                                       // 0000000057CC: 7E0A4505
	v_rcp_f32_e32 v6, v6                                       // 0000000057D0: 7E0C4506
	v_rcp_f32_e32 v7, v7                                       // 0000000057D4: 7E0E4507
	v_mul_f32_e32 v128, v128, v4                               // 0000000057D8: 0B000980
	v_mul_f32_e32 v129, v129, v5                               // 0000000057DC: 0B020B81
	v_mul_f32_e32 v130, v130, v6                               // 0000000057E0: 0B040D82
	v_mul_f32_e32 v131, v131, v7                               // 0000000057E4: 0B060F83
	v_mul_f32_e32 v128, v128, v200                             // 0000000057E8: 0B019180
	v_mul_f32_e32 v129, v129, v201                             // 0000000057EC: 0B039381
	v_mul_f32_e32 v130, v130, v202                             // 0000000057F0: 0B059582
	v_mul_f32_e32 v131, v131, v203                             // 0000000057F4: 0B079783
	v_pk_mul_f32 v[4:5], v[132:133], v[132:133]                // 0000000057F8: D3B14004 18030984
	v_pk_mul_f32 v[6:7], v[134:135], v[134:135]                // 000000005800: D3B14006 18030D86
	v_pk_fma_f32 v[4:5], v[4:5], s[78:79], v[8:9]              // 000000005808: D3B04004 1C209D04
	v_pk_fma_f32 v[6:7], v[6:7], s[78:79], v[8:9]              // 000000005810: D3B04006 1C209D06
	v_pk_mul_f32 v[4:5], v[4:5], v[132:133]                    // 000000005818: D3B14004 18030904
	v_pk_mul_f32 v[6:7], v[6:7], v[134:135]                    // 000000005820: D3B14006 18030D06
	v_pk_mul_f32 v[4:5], v[4:5], s[60:61]                      // 000000005828: D3B14004 18007904
	v_pk_mul_f32 v[6:7], v[6:7], s[60:61]                      // 000000005830: D3B14006 18007906
	v_exp_f32_e32 v4, v4                                       // 000000005838: 7E084104
	v_exp_f32_e32 v5, v5                                       // 00000000583C: 7E0A4105
	v_exp_f32_e32 v6, v6                                       // 000000005840: 7E0C4106
	v_exp_f32_e32 v7, v7                                       // 000000005844: 7E0E4107
	v_add_f32_e64 v4, v4, 1.0                                  // 000000005848: D1010004 0001E504
	v_add_f32_e64 v5, v5, 1.0                                  // 000000005850: D1010005 0001E505
	v_add_f32_e64 v6, v6, 1.0                                  // 000000005858: D1010006 0001E506
	v_add_f32_e64 v7, v7, 1.0                                  // 000000005860: D1010007 0001E507
	v_rcp_f32_e32 v4, v4                                       // 000000005868: 7E084504
	v_rcp_f32_e32 v5, v5                                       // 00000000586C: 7E0A4505
	v_rcp_f32_e32 v6, v6                                       // 000000005870: 7E0C4506
	v_rcp_f32_e32 v7, v7                                       // 000000005874: 7E0E4507
	v_mul_f32_e32 v132, v132, v4                               // 000000005878: 0B080984
	v_mul_f32_e32 v133, v133, v5                               // 00000000587C: 0B0A0B85
	v_mul_f32_e32 v134, v134, v6                               // 000000005880: 0B0C0D86
	v_mul_f32_e32 v135, v135, v7                               // 000000005884: 0B0E0F87
	v_mul_f32_e32 v132, v132, v204                             // 000000005888: 0B099984
	v_mul_f32_e32 v133, v133, v205                             // 00000000588C: 0B0B9B85
	v_mul_f32_e32 v134, v134, v206                             // 000000005890: 0B0D9D86
	v_mul_f32_e32 v135, v135, v207                             // 000000005894: 0B0F9F87
	v_pk_mul_f32 v[4:5], v[136:137], v[136:137]                // 000000005898: D3B14004 18031188
	v_pk_mul_f32 v[6:7], v[138:139], v[138:139]                // 0000000058A0: D3B14006 1803158A
	v_pk_fma_f32 v[4:5], v[4:5], s[78:79], v[8:9]              // 0000000058A8: D3B04004 1C209D04
	v_pk_fma_f32 v[6:7], v[6:7], s[78:79], v[8:9]              // 0000000058B0: D3B04006 1C209D06
	v_pk_mul_f32 v[4:5], v[4:5], v[136:137]                    // 0000000058B8: D3B14004 18031104
	v_pk_mul_f32 v[6:7], v[6:7], v[138:139]                    // 0000000058C0: D3B14006 18031506
	v_pk_mul_f32 v[4:5], v[4:5], s[60:61]                      // 0000000058C8: D3B14004 18007904
	v_pk_mul_f32 v[6:7], v[6:7], s[60:61]                      // 0000000058D0: D3B14006 18007906
	v_exp_f32_e32 v4, v4                                       // 0000000058D8: 7E084104
	v_exp_f32_e32 v5, v5                                       // 0000000058DC: 7E0A4105
	v_exp_f32_e32 v6, v6                                       // 0000000058E0: 7E0C4106
	v_exp_f32_e32 v7, v7                                       // 0000000058E4: 7E0E4107
	v_add_f32_e64 v4, v4, 1.0                                  // 0000000058E8: D1010004 0001E504
	v_add_f32_e64 v5, v5, 1.0                                  // 0000000058F0: D1010005 0001E505
	v_add_f32_e64 v6, v6, 1.0                                  // 0000000058F8: D1010006 0001E506
	v_add_f32_e64 v7, v7, 1.0                                  // 000000005900: D1010007 0001E507
	v_rcp_f32_e32 v4, v4                                       // 000000005908: 7E084504
	v_rcp_f32_e32 v5, v5                                       // 00000000590C: 7E0A4505
	v_rcp_f32_e32 v6, v6                                       // 000000005910: 7E0C4506
	v_rcp_f32_e32 v7, v7                                       // 000000005914: 7E0E4507
	v_mul_f32_e32 v136, v136, v4                               // 000000005918: 0B100988
	v_mul_f32_e32 v137, v137, v5                               // 00000000591C: 0B120B89
	v_mul_f32_e32 v138, v138, v6                               // 000000005920: 0B140D8A
	v_mul_f32_e32 v139, v139, v7                               // 000000005924: 0B160F8B
	v_mul_f32_e32 v136, v136, v208                             // 000000005928: 0B11A188
	v_mul_f32_e32 v137, v137, v209                             // 00000000592C: 0B13A389
	v_mul_f32_e32 v138, v138, v210                             // 000000005930: 0B15A58A
	v_mul_f32_e32 v139, v139, v211                             // 000000005934: 0B17A78B
	v_pk_mul_f32 v[4:5], v[140:141], v[140:141]                // 000000005938: D3B14004 1803198C
	v_pk_mul_f32 v[6:7], v[142:143], v[142:143]                // 000000005940: D3B14006 18031D8E
	v_pk_fma_f32 v[4:5], v[4:5], s[78:79], v[8:9]              // 000000005948: D3B04004 1C209D04
	v_pk_fma_f32 v[6:7], v[6:7], s[78:79], v[8:9]              // 000000005950: D3B04006 1C209D06
	v_pk_mul_f32 v[4:5], v[4:5], v[140:141]                    // 000000005958: D3B14004 18031904
	v_pk_mul_f32 v[6:7], v[6:7], v[142:143]                    // 000000005960: D3B14006 18031D06
	v_pk_mul_f32 v[4:5], v[4:5], s[60:61]                      // 000000005968: D3B14004 18007904
	v_pk_mul_f32 v[6:7], v[6:7], s[60:61]                      // 000000005970: D3B14006 18007906
	v_exp_f32_e32 v4, v4                                       // 000000005978: 7E084104
	v_exp_f32_e32 v5, v5                                       // 00000000597C: 7E0A4105
	v_exp_f32_e32 v6, v6                                       // 000000005980: 7E0C4106
	v_exp_f32_e32 v7, v7                                       // 000000005984: 7E0E4107
	v_add_f32_e64 v4, v4, 1.0                                  // 000000005988: D1010004 0001E504
	v_add_f32_e64 v5, v5, 1.0                                  // 000000005990: D1010005 0001E505
	v_add_f32_e64 v6, v6, 1.0                                  // 000000005998: D1010006 0001E506
	v_add_f32_e64 v7, v7, 1.0                                  // 0000000059A0: D1010007 0001E507
	v_rcp_f32_e32 v4, v4                                       // 0000000059A8: 7E084504
	v_rcp_f32_e32 v5, v5                                       // 0000000059AC: 7E0A4505
	v_rcp_f32_e32 v6, v6                                       // 0000000059B0: 7E0C4506
	v_rcp_f32_e32 v7, v7                                       // 0000000059B4: 7E0E4507
	v_mul_f32_e32 v140, v140, v4                               // 0000000059B8: 0B18098C
	v_mul_f32_e32 v141, v141, v5                               // 0000000059BC: 0B1A0B8D
	v_mul_f32_e32 v142, v142, v6                               // 0000000059C0: 0B1C0D8E
	v_mul_f32_e32 v143, v143, v7                               // 0000000059C4: 0B1E0F8F
	v_mul_f32_e32 v140, v140, v212                             // 0000000059C8: 0B19A98C
	v_mul_f32_e32 v141, v141, v213                             // 0000000059CC: 0B1BAB8D
	v_mul_f32_e32 v142, v142, v214                             // 0000000059D0: 0B1DAD8E
	v_mul_f32_e32 v143, v143, v215                             // 0000000059D4: 0B1FAF8F
	v_pk_mul_f32 v[4:5], v[144:145], v[144:145]                // 0000000059D8: D3B14004 18032190
	v_pk_mul_f32 v[6:7], v[146:147], v[146:147]                // 0000000059E0: D3B14006 18032592
	v_pk_fma_f32 v[4:5], v[4:5], s[78:79], v[8:9]              // 0000000059E8: D3B04004 1C209D04
	v_pk_fma_f32 v[6:7], v[6:7], s[78:79], v[8:9]              // 0000000059F0: D3B04006 1C209D06
	v_pk_mul_f32 v[4:5], v[4:5], v[144:145]                    // 0000000059F8: D3B14004 18032104
	v_pk_mul_f32 v[6:7], v[6:7], v[146:147]                    // 000000005A00: D3B14006 18032506
	v_pk_mul_f32 v[4:5], v[4:5], s[60:61]                      // 000000005A08: D3B14004 18007904
	v_pk_mul_f32 v[6:7], v[6:7], s[60:61]                      // 000000005A10: D3B14006 18007906
	v_exp_f32_e32 v4, v4                                       // 000000005A18: 7E084104
	v_exp_f32_e32 v5, v5                                       // 000000005A1C: 7E0A4105
	v_exp_f32_e32 v6, v6                                       // 000000005A20: 7E0C4106
	v_exp_f32_e32 v7, v7                                       // 000000005A24: 7E0E4107
	v_add_f32_e64 v4, v4, 1.0                                  // 000000005A28: D1010004 0001E504
	v_add_f32_e64 v5, v5, 1.0                                  // 000000005A30: D1010005 0001E505
	v_add_f32_e64 v6, v6, 1.0                                  // 000000005A38: D1010006 0001E506
	v_add_f32_e64 v7, v7, 1.0                                  // 000000005A40: D1010007 0001E507
	v_rcp_f32_e32 v4, v4                                       // 000000005A48: 7E084504
	v_rcp_f32_e32 v5, v5                                       // 000000005A4C: 7E0A4505
	v_rcp_f32_e32 v6, v6                                       // 000000005A50: 7E0C4506
	v_rcp_f32_e32 v7, v7                                       // 000000005A54: 7E0E4507
	v_mul_f32_e32 v144, v144, v4                               // 000000005A58: 0B200990
	v_mul_f32_e32 v145, v145, v5                               // 000000005A5C: 0B220B91
	v_mul_f32_e32 v146, v146, v6                               // 000000005A60: 0B240D92
	v_mul_f32_e32 v147, v147, v7                               // 000000005A64: 0B260F93
	v_mul_f32_e32 v144, v144, v216                             // 000000005A68: 0B21B190
	v_mul_f32_e32 v145, v145, v217                             // 000000005A6C: 0B23B391
	v_mul_f32_e32 v146, v146, v218                             // 000000005A70: 0B25B592
	v_mul_f32_e32 v147, v147, v219                             // 000000005A74: 0B27B793
	v_pk_mul_f32 v[4:5], v[148:149], v[148:149]                // 000000005A78: D3B14004 18032994
	v_pk_mul_f32 v[6:7], v[150:151], v[150:151]                // 000000005A80: D3B14006 18032D96
	v_pk_fma_f32 v[4:5], v[4:5], s[78:79], v[8:9]              // 000000005A88: D3B04004 1C209D04
	v_pk_fma_f32 v[6:7], v[6:7], s[78:79], v[8:9]              // 000000005A90: D3B04006 1C209D06
	v_pk_mul_f32 v[4:5], v[4:5], v[148:149]                    // 000000005A98: D3B14004 18032904
	v_pk_mul_f32 v[6:7], v[6:7], v[150:151]                    // 000000005AA0: D3B14006 18032D06
	v_pk_mul_f32 v[4:5], v[4:5], s[60:61]                      // 000000005AA8: D3B14004 18007904
	v_pk_mul_f32 v[6:7], v[6:7], s[60:61]                      // 000000005AB0: D3B14006 18007906
	v_exp_f32_e32 v4, v4                                       // 000000005AB8: 7E084104
	v_exp_f32_e32 v5, v5                                       // 000000005ABC: 7E0A4105
	v_exp_f32_e32 v6, v6                                       // 000000005AC0: 7E0C4106
	v_exp_f32_e32 v7, v7                                       // 000000005AC4: 7E0E4107
	v_add_f32_e64 v4, v4, 1.0                                  // 000000005AC8: D1010004 0001E504
	v_add_f32_e64 v5, v5, 1.0                                  // 000000005AD0: D1010005 0001E505
	v_add_f32_e64 v6, v6, 1.0                                  // 000000005AD8: D1010006 0001E506
	v_add_f32_e64 v7, v7, 1.0                                  // 000000005AE0: D1010007 0001E507
	v_rcp_f32_e32 v4, v4                                       // 000000005AE8: 7E084504
	v_rcp_f32_e32 v5, v5                                       // 000000005AEC: 7E0A4505
	v_rcp_f32_e32 v6, v6                                       // 000000005AF0: 7E0C4506
	v_rcp_f32_e32 v7, v7                                       // 000000005AF4: 7E0E4507
	v_mul_f32_e32 v148, v148, v4                               // 000000005AF8: 0B280994
	v_mul_f32_e32 v149, v149, v5                               // 000000005AFC: 0B2A0B95
	v_mul_f32_e32 v150, v150, v6                               // 000000005B00: 0B2C0D96
	v_mul_f32_e32 v151, v151, v7                               // 000000005B04: 0B2E0F97
	v_mul_f32_e32 v148, v148, v220                             // 000000005B08: 0B29B994
	v_mul_f32_e32 v149, v149, v221                             // 000000005B0C: 0B2BBB95
	v_mul_f32_e32 v150, v150, v222                             // 000000005B10: 0B2DBD96
	v_mul_f32_e32 v151, v151, v223                             // 000000005B14: 0B2FBF97
	v_pk_mul_f32 v[4:5], v[152:153], v[152:153]                // 000000005B18: D3B14004 18033198
	v_pk_mul_f32 v[6:7], v[154:155], v[154:155]                // 000000005B20: D3B14006 1803359A
	v_pk_fma_f32 v[4:5], v[4:5], s[78:79], v[8:9]              // 000000005B28: D3B04004 1C209D04
	v_pk_fma_f32 v[6:7], v[6:7], s[78:79], v[8:9]              // 000000005B30: D3B04006 1C209D06
	v_pk_mul_f32 v[4:5], v[4:5], v[152:153]                    // 000000005B38: D3B14004 18033104
	v_pk_mul_f32 v[6:7], v[6:7], v[154:155]                    // 000000005B40: D3B14006 18033506
	v_pk_mul_f32 v[4:5], v[4:5], s[60:61]                      // 000000005B48: D3B14004 18007904
	v_pk_mul_f32 v[6:7], v[6:7], s[60:61]                      // 000000005B50: D3B14006 18007906
	v_exp_f32_e32 v4, v4                                       // 000000005B58: 7E084104
	v_exp_f32_e32 v5, v5                                       // 000000005B5C: 7E0A4105
	v_exp_f32_e32 v6, v6                                       // 000000005B60: 7E0C4106
	v_exp_f32_e32 v7, v7                                       // 000000005B64: 7E0E4107
	v_add_f32_e64 v4, v4, 1.0                                  // 000000005B68: D1010004 0001E504
	v_add_f32_e64 v5, v5, 1.0                                  // 000000005B70: D1010005 0001E505
	v_add_f32_e64 v6, v6, 1.0                                  // 000000005B78: D1010006 0001E506
	v_add_f32_e64 v7, v7, 1.0                                  // 000000005B80: D1010007 0001E507
	v_rcp_f32_e32 v4, v4                                       // 000000005B88: 7E084504
	v_rcp_f32_e32 v5, v5                                       // 000000005B8C: 7E0A4505
	v_rcp_f32_e32 v6, v6                                       // 000000005B90: 7E0C4506
	v_rcp_f32_e32 v7, v7                                       // 000000005B94: 7E0E4507
	v_mul_f32_e32 v152, v152, v4                               // 000000005B98: 0B300998
	v_mul_f32_e32 v153, v153, v5                               // 000000005B9C: 0B320B99
	v_mul_f32_e32 v154, v154, v6                               // 000000005BA0: 0B340D9A
	v_mul_f32_e32 v155, v155, v7                               // 000000005BA4: 0B360F9B
	v_mul_f32_e32 v152, v152, v224                             // 000000005BA8: 0B31C198
	v_mul_f32_e32 v153, v153, v225                             // 000000005BAC: 0B33C399
	v_mul_f32_e32 v154, v154, v226                             // 000000005BB0: 0B35C59A
	v_mul_f32_e32 v155, v155, v227                             // 000000005BB4: 0B37C79B
	s_branch label_0EAF                                        // 000000005BB8: BF820240

0000000000005bbc <label_0C6F>:
	v_mul_f32_e64 v4, -v84, s6                                 // 000000005BBC: D1050004 20000D54
	v_mul_f32_e64 v5, -v85, s6                                 // 000000005BC4: D1050005 20000D55
	v_mul_f32_e64 v6, -v86, s6                                 // 000000005BCC: D1050006 20000D56
	v_mul_f32_e64 v7, -v87, s6                                 // 000000005BD4: D1050007 20000D57
	v_exp_f32_e32 v4, v4                                       // 000000005BDC: 7E084104
	v_exp_f32_e32 v5, v5                                       // 000000005BE0: 7E0A4105
	v_exp_f32_e32 v6, v6                                       // 000000005BE4: 7E0C4106
	v_exp_f32_e32 v7, v7                                       // 000000005BE8: 7E0E4107
	v_add_f32_e64 v4, v4, 1.0                                  // 000000005BEC: D1010004 0001E504
	v_add_f32_e64 v5, v5, 1.0                                  // 000000005BF4: D1010005 0001E505
	v_add_f32_e64 v6, v6, 1.0                                  // 000000005BFC: D1010006 0001E506
	v_add_f32_e64 v7, v7, 1.0                                  // 000000005C04: D1010007 0001E507
	v_rcp_f32_e32 v4, v4                                       // 000000005C0C: 7E084504
	v_rcp_f32_e32 v5, v5                                       // 000000005C10: 7E0A4505
	v_rcp_f32_e32 v6, v6                                       // 000000005C14: 7E0C4506
	v_rcp_f32_e32 v7, v7                                       // 000000005C18: 7E0E4507
	v_mul_f32_e32 v84, v84, v4                                 // 000000005C1C: 0AA80954
	v_mul_f32_e32 v85, v85, v5                                 // 000000005C20: 0AAA0B55
	v_mul_f32_e32 v86, v86, v6                                 // 000000005C24: 0AAC0D56
	v_mul_f32_e32 v87, v87, v7                                 // 000000005C28: 0AAE0F57
	v_mul_f32_e32 v84, v84, v156                               // 000000005C2C: 0AA93954
	v_mul_f32_e32 v85, v85, v157                               // 000000005C30: 0AAB3B55
	v_mul_f32_e32 v86, v86, v158                               // 000000005C34: 0AAD3D56
	v_mul_f32_e32 v87, v87, v159                               // 000000005C38: 0AAF3F57
	v_mul_f32_e64 v4, -v88, s6                                 // 000000005C3C: D1050004 20000D58
	v_mul_f32_e64 v5, -v89, s6                                 // 000000005C44: D1050005 20000D59
	v_mul_f32_e64 v6, -v90, s6                                 // 000000005C4C: D1050006 20000D5A
	v_mul_f32_e64 v7, -v91, s6                                 // 000000005C54: D1050007 20000D5B
	v_exp_f32_e32 v4, v4                                       // 000000005C5C: 7E084104
	v_exp_f32_e32 v5, v5                                       // 000000005C60: 7E0A4105
	v_exp_f32_e32 v6, v6                                       // 000000005C64: 7E0C4106
	v_exp_f32_e32 v7, v7                                       // 000000005C68: 7E0E4107
	v_add_f32_e64 v4, v4, 1.0                                  // 000000005C6C: D1010004 0001E504
	v_add_f32_e64 v5, v5, 1.0                                  // 000000005C74: D1010005 0001E505
	v_add_f32_e64 v6, v6, 1.0                                  // 000000005C7C: D1010006 0001E506
	v_add_f32_e64 v7, v7, 1.0                                  // 000000005C84: D1010007 0001E507
	v_rcp_f32_e32 v4, v4                                       // 000000005C8C: 7E084504
	v_rcp_f32_e32 v5, v5                                       // 000000005C90: 7E0A4505
	v_rcp_f32_e32 v6, v6                                       // 000000005C94: 7E0C4506
	v_rcp_f32_e32 v7, v7                                       // 000000005C98: 7E0E4507
	v_mul_f32_e32 v88, v88, v4                                 // 000000005C9C: 0AB00958
	v_mul_f32_e32 v89, v89, v5                                 // 000000005CA0: 0AB20B59
	v_mul_f32_e32 v90, v90, v6                                 // 000000005CA4: 0AB40D5A
	v_mul_f32_e32 v91, v91, v7                                 // 000000005CA8: 0AB60F5B
	v_mul_f32_e32 v88, v88, v160                               // 000000005CAC: 0AB14158
	v_mul_f32_e32 v89, v89, v161                               // 000000005CB0: 0AB34359
	v_mul_f32_e32 v90, v90, v162                               // 000000005CB4: 0AB5455A
	v_mul_f32_e32 v91, v91, v163                               // 000000005CB8: 0AB7475B
	v_mul_f32_e64 v4, -v92, s6                                 // 000000005CBC: D1050004 20000D5C
	v_mul_f32_e64 v5, -v93, s6                                 // 000000005CC4: D1050005 20000D5D
	v_mul_f32_e64 v6, -v94, s6                                 // 000000005CCC: D1050006 20000D5E
	v_mul_f32_e64 v7, -v95, s6                                 // 000000005CD4: D1050007 20000D5F
	v_exp_f32_e32 v4, v4                                       // 000000005CDC: 7E084104
	v_exp_f32_e32 v5, v5                                       // 000000005CE0: 7E0A4105
	v_exp_f32_e32 v6, v6                                       // 000000005CE4: 7E0C4106
	v_exp_f32_e32 v7, v7                                       // 000000005CE8: 7E0E4107
	v_add_f32_e64 v4, v4, 1.0                                  // 000000005CEC: D1010004 0001E504
	v_add_f32_e64 v5, v5, 1.0                                  // 000000005CF4: D1010005 0001E505
	v_add_f32_e64 v6, v6, 1.0                                  // 000000005CFC: D1010006 0001E506
	v_add_f32_e64 v7, v7, 1.0                                  // 000000005D04: D1010007 0001E507
	v_rcp_f32_e32 v4, v4                                       // 000000005D0C: 7E084504
	v_rcp_f32_e32 v5, v5                                       // 000000005D10: 7E0A4505
	v_rcp_f32_e32 v6, v6                                       // 000000005D14: 7E0C4506
	v_rcp_f32_e32 v7, v7                                       // 000000005D18: 7E0E4507
	v_mul_f32_e32 v92, v92, v4                                 // 000000005D1C: 0AB8095C
	v_mul_f32_e32 v93, v93, v5                                 // 000000005D20: 0ABA0B5D
	v_mul_f32_e32 v94, v94, v6                                 // 000000005D24: 0ABC0D5E
	v_mul_f32_e32 v95, v95, v7                                 // 000000005D28: 0ABE0F5F
	v_mul_f32_e32 v92, v92, v164                               // 000000005D2C: 0AB9495C
	v_mul_f32_e32 v93, v93, v165                               // 000000005D30: 0ABB4B5D
	v_mul_f32_e32 v94, v94, v166                               // 000000005D34: 0ABD4D5E
	v_mul_f32_e32 v95, v95, v167                               // 000000005D38: 0ABF4F5F
	v_mul_f32_e64 v4, -v96, s6                                 // 000000005D3C: D1050004 20000D60
	v_mul_f32_e64 v5, -v97, s6                                 // 000000005D44: D1050005 20000D61
	v_mul_f32_e64 v6, -v98, s6                                 // 000000005D4C: D1050006 20000D62
	v_mul_f32_e64 v7, -v99, s6                                 // 000000005D54: D1050007 20000D63
	v_exp_f32_e32 v4, v4                                       // 000000005D5C: 7E084104
	v_exp_f32_e32 v5, v5                                       // 000000005D60: 7E0A4105
	v_exp_f32_e32 v6, v6                                       // 000000005D64: 7E0C4106
	v_exp_f32_e32 v7, v7                                       // 000000005D68: 7E0E4107
	v_add_f32_e64 v4, v4, 1.0                                  // 000000005D6C: D1010004 0001E504
	v_add_f32_e64 v5, v5, 1.0                                  // 000000005D74: D1010005 0001E505
	v_add_f32_e64 v6, v6, 1.0                                  // 000000005D7C: D1010006 0001E506
	v_add_f32_e64 v7, v7, 1.0                                  // 000000005D84: D1010007 0001E507
	v_rcp_f32_e32 v4, v4                                       // 000000005D8C: 7E084504
	v_rcp_f32_e32 v5, v5                                       // 000000005D90: 7E0A4505
	v_rcp_f32_e32 v6, v6                                       // 000000005D94: 7E0C4506
	v_rcp_f32_e32 v7, v7                                       // 000000005D98: 7E0E4507
	v_mul_f32_e32 v96, v96, v4                                 // 000000005D9C: 0AC00960
	v_mul_f32_e32 v97, v97, v5                                 // 000000005DA0: 0AC20B61
	v_mul_f32_e32 v98, v98, v6                                 // 000000005DA4: 0AC40D62
	v_mul_f32_e32 v99, v99, v7                                 // 000000005DA8: 0AC60F63
	v_mul_f32_e32 v96, v96, v168                               // 000000005DAC: 0AC15160
	v_mul_f32_e32 v97, v97, v169                               // 000000005DB0: 0AC35361
	v_mul_f32_e32 v98, v98, v170                               // 000000005DB4: 0AC55562
	v_mul_f32_e32 v99, v99, v171                               // 000000005DB8: 0AC75763
	v_mul_f32_e64 v4, -v100, s6                                // 000000005DBC: D1050004 20000D64
	v_mul_f32_e64 v5, -v101, s6                                // 000000005DC4: D1050005 20000D65
	v_mul_f32_e64 v6, -v102, s6                                // 000000005DCC: D1050006 20000D66
	v_mul_f32_e64 v7, -v103, s6                                // 000000005DD4: D1050007 20000D67
	v_exp_f32_e32 v4, v4                                       // 000000005DDC: 7E084104
	v_exp_f32_e32 v5, v5                                       // 000000005DE0: 7E0A4105
	v_exp_f32_e32 v6, v6                                       // 000000005DE4: 7E0C4106
	v_exp_f32_e32 v7, v7                                       // 000000005DE8: 7E0E4107
	v_add_f32_e64 v4, v4, 1.0                                  // 000000005DEC: D1010004 0001E504
	v_add_f32_e64 v5, v5, 1.0                                  // 000000005DF4: D1010005 0001E505
	v_add_f32_e64 v6, v6, 1.0                                  // 000000005DFC: D1010006 0001E506
	v_add_f32_e64 v7, v7, 1.0                                  // 000000005E04: D1010007 0001E507
	v_rcp_f32_e32 v4, v4                                       // 000000005E0C: 7E084504
	v_rcp_f32_e32 v5, v5                                       // 000000005E10: 7E0A4505
	v_rcp_f32_e32 v6, v6                                       // 000000005E14: 7E0C4506
	v_rcp_f32_e32 v7, v7                                       // 000000005E18: 7E0E4507
	v_mul_f32_e32 v100, v100, v4                               // 000000005E1C: 0AC80964
	v_mul_f32_e32 v101, v101, v5                               // 000000005E20: 0ACA0B65
	v_mul_f32_e32 v102, v102, v6                               // 000000005E24: 0ACC0D66
	v_mul_f32_e32 v103, v103, v7                               // 000000005E28: 0ACE0F67
	v_mul_f32_e32 v100, v100, v172                             // 000000005E2C: 0AC95964
	v_mul_f32_e32 v101, v101, v173                             // 000000005E30: 0ACB5B65
	v_mul_f32_e32 v102, v102, v174                             // 000000005E34: 0ACD5D66
	v_mul_f32_e32 v103, v103, v175                             // 000000005E38: 0ACF5F67
	v_mul_f32_e64 v4, -v104, s6                                // 000000005E3C: D1050004 20000D68
	v_mul_f32_e64 v5, -v105, s6                                // 000000005E44: D1050005 20000D69
	v_mul_f32_e64 v6, -v106, s6                                // 000000005E4C: D1050006 20000D6A
	v_mul_f32_e64 v7, -v107, s6                                // 000000005E54: D1050007 20000D6B
	v_exp_f32_e32 v4, v4                                       // 000000005E5C: 7E084104
	v_exp_f32_e32 v5, v5                                       // 000000005E60: 7E0A4105
	v_exp_f32_e32 v6, v6                                       // 000000005E64: 7E0C4106
	v_exp_f32_e32 v7, v7                                       // 000000005E68: 7E0E4107
	v_add_f32_e64 v4, v4, 1.0                                  // 000000005E6C: D1010004 0001E504
	v_add_f32_e64 v5, v5, 1.0                                  // 000000005E74: D1010005 0001E505
	v_add_f32_e64 v6, v6, 1.0                                  // 000000005E7C: D1010006 0001E506
	v_add_f32_e64 v7, v7, 1.0                                  // 000000005E84: D1010007 0001E507
	v_rcp_f32_e32 v4, v4                                       // 000000005E8C: 7E084504
	v_rcp_f32_e32 v5, v5                                       // 000000005E90: 7E0A4505
	v_rcp_f32_e32 v6, v6                                       // 000000005E94: 7E0C4506
	v_rcp_f32_e32 v7, v7                                       // 000000005E98: 7E0E4507
	v_mul_f32_e32 v104, v104, v4                               // 000000005E9C: 0AD00968
	v_mul_f32_e32 v105, v105, v5                               // 000000005EA0: 0AD20B69
	v_mul_f32_e32 v106, v106, v6                               // 000000005EA4: 0AD40D6A
	v_mul_f32_e32 v107, v107, v7                               // 000000005EA8: 0AD60F6B
	v_mul_f32_e32 v104, v104, v176                             // 000000005EAC: 0AD16168
	v_mul_f32_e32 v105, v105, v177                             // 000000005EB0: 0AD36369
	v_mul_f32_e32 v106, v106, v178                             // 000000005EB4: 0AD5656A
	v_mul_f32_e32 v107, v107, v179                             // 000000005EB8: 0AD7676B
	v_mul_f32_e64 v4, -v108, s6                                // 000000005EBC: D1050004 20000D6C
	v_mul_f32_e64 v5, -v109, s6                                // 000000005EC4: D1050005 20000D6D
	v_mul_f32_e64 v6, -v110, s6                                // 000000005ECC: D1050006 20000D6E
	v_mul_f32_e64 v7, -v111, s6                                // 000000005ED4: D1050007 20000D6F
	v_exp_f32_e32 v4, v4                                       // 000000005EDC: 7E084104
	v_exp_f32_e32 v5, v5                                       // 000000005EE0: 7E0A4105
	v_exp_f32_e32 v6, v6                                       // 000000005EE4: 7E0C4106
	v_exp_f32_e32 v7, v7                                       // 000000005EE8: 7E0E4107
	v_add_f32_e64 v4, v4, 1.0                                  // 000000005EEC: D1010004 0001E504
	v_add_f32_e64 v5, v5, 1.0                                  // 000000005EF4: D1010005 0001E505
	v_add_f32_e64 v6, v6, 1.0                                  // 000000005EFC: D1010006 0001E506
	v_add_f32_e64 v7, v7, 1.0                                  // 000000005F04: D1010007 0001E507
	v_rcp_f32_e32 v4, v4                                       // 000000005F0C: 7E084504
	v_rcp_f32_e32 v5, v5                                       // 000000005F10: 7E0A4505
	v_rcp_f32_e32 v6, v6                                       // 000000005F14: 7E0C4506
	v_rcp_f32_e32 v7, v7                                       // 000000005F18: 7E0E4507
	v_mul_f32_e32 v108, v108, v4                               // 000000005F1C: 0AD8096C
	v_mul_f32_e32 v109, v109, v5                               // 000000005F20: 0ADA0B6D
	v_mul_f32_e32 v110, v110, v6                               // 000000005F24: 0ADC0D6E
	v_mul_f32_e32 v111, v111, v7                               // 000000005F28: 0ADE0F6F
	v_mul_f32_e32 v108, v108, v180                             // 000000005F2C: 0AD9696C
	v_mul_f32_e32 v109, v109, v181                             // 000000005F30: 0ADB6B6D
	v_mul_f32_e32 v110, v110, v182                             // 000000005F34: 0ADD6D6E
	v_mul_f32_e32 v111, v111, v183                             // 000000005F38: 0ADF6F6F
	v_mul_f32_e64 v4, -v112, s6                                // 000000005F3C: D1050004 20000D70
	v_mul_f32_e64 v5, -v113, s6                                // 000000005F44: D1050005 20000D71
	v_mul_f32_e64 v6, -v114, s6                                // 000000005F4C: D1050006 20000D72
	v_mul_f32_e64 v7, -v115, s6                                // 000000005F54: D1050007 20000D73
	v_exp_f32_e32 v4, v4                                       // 000000005F5C: 7E084104
	v_exp_f32_e32 v5, v5                                       // 000000005F60: 7E0A4105
	v_exp_f32_e32 v6, v6                                       // 000000005F64: 7E0C4106
	v_exp_f32_e32 v7, v7                                       // 000000005F68: 7E0E4107
	v_add_f32_e64 v4, v4, 1.0                                  // 000000005F6C: D1010004 0001E504
	v_add_f32_e64 v5, v5, 1.0                                  // 000000005F74: D1010005 0001E505
	v_add_f32_e64 v6, v6, 1.0                                  // 000000005F7C: D1010006 0001E506
	v_add_f32_e64 v7, v7, 1.0                                  // 000000005F84: D1010007 0001E507
	v_rcp_f32_e32 v4, v4                                       // 000000005F8C: 7E084504
	v_rcp_f32_e32 v5, v5                                       // 000000005F90: 7E0A4505
	v_rcp_f32_e32 v6, v6                                       // 000000005F94: 7E0C4506
	v_rcp_f32_e32 v7, v7                                       // 000000005F98: 7E0E4507
	v_mul_f32_e32 v112, v112, v4                               // 000000005F9C: 0AE00970
	v_mul_f32_e32 v113, v113, v5                               // 000000005FA0: 0AE20B71
	v_mul_f32_e32 v114, v114, v6                               // 000000005FA4: 0AE40D72
	v_mul_f32_e32 v115, v115, v7                               // 000000005FA8: 0AE60F73
	v_mul_f32_e32 v112, v112, v184                             // 000000005FAC: 0AE17170
	v_mul_f32_e32 v113, v113, v185                             // 000000005FB0: 0AE37371
	v_mul_f32_e32 v114, v114, v186                             // 000000005FB4: 0AE57572
	v_mul_f32_e32 v115, v115, v187                             // 000000005FB8: 0AE77773
	v_mul_f32_e64 v4, -v116, s6                                // 000000005FBC: D1050004 20000D74
	v_mul_f32_e64 v5, -v117, s6                                // 000000005FC4: D1050005 20000D75
	v_mul_f32_e64 v6, -v118, s6                                // 000000005FCC: D1050006 20000D76
	v_mul_f32_e64 v7, -v119, s6                                // 000000005FD4: D1050007 20000D77
	v_exp_f32_e32 v4, v4                                       // 000000005FDC: 7E084104
	v_exp_f32_e32 v5, v5                                       // 000000005FE0: 7E0A4105
	v_exp_f32_e32 v6, v6                                       // 000000005FE4: 7E0C4106
	v_exp_f32_e32 v7, v7                                       // 000000005FE8: 7E0E4107
	v_add_f32_e64 v4, v4, 1.0                                  // 000000005FEC: D1010004 0001E504
	v_add_f32_e64 v5, v5, 1.0                                  // 000000005FF4: D1010005 0001E505
	v_add_f32_e64 v6, v6, 1.0                                  // 000000005FFC: D1010006 0001E506
	v_add_f32_e64 v7, v7, 1.0                                  // 000000006004: D1010007 0001E507
	v_rcp_f32_e32 v4, v4                                       // 00000000600C: 7E084504
	v_rcp_f32_e32 v5, v5                                       // 000000006010: 7E0A4505
	v_rcp_f32_e32 v6, v6                                       // 000000006014: 7E0C4506
	v_rcp_f32_e32 v7, v7                                       // 000000006018: 7E0E4507
	v_mul_f32_e32 v116, v116, v4                               // 00000000601C: 0AE80974
	v_mul_f32_e32 v117, v117, v5                               // 000000006020: 0AEA0B75
	v_mul_f32_e32 v118, v118, v6                               // 000000006024: 0AEC0D76
	v_mul_f32_e32 v119, v119, v7                               // 000000006028: 0AEE0F77
	v_mul_f32_e32 v116, v116, v188                             // 00000000602C: 0AE97974
	v_mul_f32_e32 v117, v117, v189                             // 000000006030: 0AEB7B75
	v_mul_f32_e32 v118, v118, v190                             // 000000006034: 0AED7D76
	v_mul_f32_e32 v119, v119, v191                             // 000000006038: 0AEF7F77
	v_mul_f32_e64 v4, -v120, s6                                // 00000000603C: D1050004 20000D78
	v_mul_f32_e64 v5, -v121, s6                                // 000000006044: D1050005 20000D79
	v_mul_f32_e64 v6, -v122, s6                                // 00000000604C: D1050006 20000D7A
	v_mul_f32_e64 v7, -v123, s6                                // 000000006054: D1050007 20000D7B
	v_exp_f32_e32 v4, v4                                       // 00000000605C: 7E084104
	v_exp_f32_e32 v5, v5                                       // 000000006060: 7E0A4105
	v_exp_f32_e32 v6, v6                                       // 000000006064: 7E0C4106
	v_exp_f32_e32 v7, v7                                       // 000000006068: 7E0E4107
	v_add_f32_e64 v4, v4, 1.0                                  // 00000000606C: D1010004 0001E504
	v_add_f32_e64 v5, v5, 1.0                                  // 000000006074: D1010005 0001E505
	v_add_f32_e64 v6, v6, 1.0                                  // 00000000607C: D1010006 0001E506
	v_add_f32_e64 v7, v7, 1.0                                  // 000000006084: D1010007 0001E507
	v_rcp_f32_e32 v4, v4                                       // 00000000608C: 7E084504
	v_rcp_f32_e32 v5, v5                                       // 000000006090: 7E0A4505
	v_rcp_f32_e32 v6, v6                                       // 000000006094: 7E0C4506
	v_rcp_f32_e32 v7, v7                                       // 000000006098: 7E0E4507
	v_mul_f32_e32 v120, v120, v4                               // 00000000609C: 0AF00978
	v_mul_f32_e32 v121, v121, v5                               // 0000000060A0: 0AF20B79
	v_mul_f32_e32 v122, v122, v6                               // 0000000060A4: 0AF40D7A
	v_mul_f32_e32 v123, v123, v7                               // 0000000060A8: 0AF60F7B
	v_mul_f32_e32 v120, v120, v192                             // 0000000060AC: 0AF18178
	v_mul_f32_e32 v121, v121, v193                             // 0000000060B0: 0AF38379
	v_mul_f32_e32 v122, v122, v194                             // 0000000060B4: 0AF5857A
	v_mul_f32_e32 v123, v123, v195                             // 0000000060B8: 0AF7877B
	v_mul_f32_e64 v4, -v124, s6                                // 0000000060BC: D1050004 20000D7C
	v_mul_f32_e64 v5, -v125, s6                                // 0000000060C4: D1050005 20000D7D
	v_mul_f32_e64 v6, -v126, s6                                // 0000000060CC: D1050006 20000D7E
	v_mul_f32_e64 v7, -v127, s6                                // 0000000060D4: D1050007 20000D7F
	v_exp_f32_e32 v4, v4                                       // 0000000060DC: 7E084104
	v_exp_f32_e32 v5, v5                                       // 0000000060E0: 7E0A4105
	v_exp_f32_e32 v6, v6                                       // 0000000060E4: 7E0C4106
	v_exp_f32_e32 v7, v7                                       // 0000000060E8: 7E0E4107
	v_add_f32_e64 v4, v4, 1.0                                  // 0000000060EC: D1010004 0001E504
	v_add_f32_e64 v5, v5, 1.0                                  // 0000000060F4: D1010005 0001E505
	v_add_f32_e64 v6, v6, 1.0                                  // 0000000060FC: D1010006 0001E506
	v_add_f32_e64 v7, v7, 1.0                                  // 000000006104: D1010007 0001E507
	v_rcp_f32_e32 v4, v4                                       // 00000000610C: 7E084504
	v_rcp_f32_e32 v5, v5                                       // 000000006110: 7E0A4505
	v_rcp_f32_e32 v6, v6                                       // 000000006114: 7E0C4506
	v_rcp_f32_e32 v7, v7                                       // 000000006118: 7E0E4507
	v_mul_f32_e32 v124, v124, v4                               // 00000000611C: 0AF8097C
	v_mul_f32_e32 v125, v125, v5                               // 000000006120: 0AFA0B7D
	v_mul_f32_e32 v126, v126, v6                               // 000000006124: 0AFC0D7E
	v_mul_f32_e32 v127, v127, v7                               // 000000006128: 0AFE0F7F
	v_mul_f32_e32 v124, v124, v196                             // 00000000612C: 0AF9897C
	v_mul_f32_e32 v125, v125, v197                             // 000000006130: 0AFB8B7D
	v_mul_f32_e32 v126, v126, v198                             // 000000006134: 0AFD8D7E
	v_mul_f32_e32 v127, v127, v199                             // 000000006138: 0AFF8F7F
	v_mul_f32_e64 v4, -v128, s6                                // 00000000613C: D1050004 20000D80
	v_mul_f32_e64 v5, -v129, s6                                // 000000006144: D1050005 20000D81
	v_mul_f32_e64 v6, -v130, s6                                // 00000000614C: D1050006 20000D82
	v_mul_f32_e64 v7, -v131, s6                                // 000000006154: D1050007 20000D83
	v_exp_f32_e32 v4, v4                                       // 00000000615C: 7E084104
	v_exp_f32_e32 v5, v5                                       // 000000006160: 7E0A4105
	v_exp_f32_e32 v6, v6                                       // 000000006164: 7E0C4106
	v_exp_f32_e32 v7, v7                                       // 000000006168: 7E0E4107
	v_add_f32_e64 v4, v4, 1.0                                  // 00000000616C: D1010004 0001E504
	v_add_f32_e64 v5, v5, 1.0                                  // 000000006174: D1010005 0001E505
	v_add_f32_e64 v6, v6, 1.0                                  // 00000000617C: D1010006 0001E506
	v_add_f32_e64 v7, v7, 1.0                                  // 000000006184: D1010007 0001E507
	v_rcp_f32_e32 v4, v4                                       // 00000000618C: 7E084504
	v_rcp_f32_e32 v5, v5                                       // 000000006190: 7E0A4505
	v_rcp_f32_e32 v6, v6                                       // 000000006194: 7E0C4506
	v_rcp_f32_e32 v7, v7                                       // 000000006198: 7E0E4507
	v_mul_f32_e32 v128, v128, v4                               // 00000000619C: 0B000980
	v_mul_f32_e32 v129, v129, v5                               // 0000000061A0: 0B020B81
	v_mul_f32_e32 v130, v130, v6                               // 0000000061A4: 0B040D82
	v_mul_f32_e32 v131, v131, v7                               // 0000000061A8: 0B060F83
	v_mul_f32_e32 v128, v128, v200                             // 0000000061AC: 0B019180
	v_mul_f32_e32 v129, v129, v201                             // 0000000061B0: 0B039381
	v_mul_f32_e32 v130, v130, v202                             // 0000000061B4: 0B059582
	v_mul_f32_e32 v131, v131, v203                             // 0000000061B8: 0B079783
	v_mul_f32_e64 v4, -v132, s6                                // 0000000061BC: D1050004 20000D84
	v_mul_f32_e64 v5, -v133, s6                                // 0000000061C4: D1050005 20000D85
	v_mul_f32_e64 v6, -v134, s6                                // 0000000061CC: D1050006 20000D86
	v_mul_f32_e64 v7, -v135, s6                                // 0000000061D4: D1050007 20000D87
	v_exp_f32_e32 v4, v4                                       // 0000000061DC: 7E084104
	v_exp_f32_e32 v5, v5                                       // 0000000061E0: 7E0A4105
	v_exp_f32_e32 v6, v6                                       // 0000000061E4: 7E0C4106
	v_exp_f32_e32 v7, v7                                       // 0000000061E8: 7E0E4107
	v_add_f32_e64 v4, v4, 1.0                                  // 0000000061EC: D1010004 0001E504
	v_add_f32_e64 v5, v5, 1.0                                  // 0000000061F4: D1010005 0001E505
	v_add_f32_e64 v6, v6, 1.0                                  // 0000000061FC: D1010006 0001E506
	v_add_f32_e64 v7, v7, 1.0                                  // 000000006204: D1010007 0001E507
	v_rcp_f32_e32 v4, v4                                       // 00000000620C: 7E084504
	v_rcp_f32_e32 v5, v5                                       // 000000006210: 7E0A4505
	v_rcp_f32_e32 v6, v6                                       // 000000006214: 7E0C4506
	v_rcp_f32_e32 v7, v7                                       // 000000006218: 7E0E4507
	v_mul_f32_e32 v132, v132, v4                               // 00000000621C: 0B080984
	v_mul_f32_e32 v133, v133, v5                               // 000000006220: 0B0A0B85
	v_mul_f32_e32 v134, v134, v6                               // 000000006224: 0B0C0D86
	v_mul_f32_e32 v135, v135, v7                               // 000000006228: 0B0E0F87
	v_mul_f32_e32 v132, v132, v204                             // 00000000622C: 0B099984
	v_mul_f32_e32 v133, v133, v205                             // 000000006230: 0B0B9B85
	v_mul_f32_e32 v134, v134, v206                             // 000000006234: 0B0D9D86
	v_mul_f32_e32 v135, v135, v207                             // 000000006238: 0B0F9F87
	v_mul_f32_e64 v4, -v136, s6                                // 00000000623C: D1050004 20000D88
	v_mul_f32_e64 v5, -v137, s6                                // 000000006244: D1050005 20000D89
	v_mul_f32_e64 v6, -v138, s6                                // 00000000624C: D1050006 20000D8A
	v_mul_f32_e64 v7, -v139, s6                                // 000000006254: D1050007 20000D8B
	v_exp_f32_e32 v4, v4                                       // 00000000625C: 7E084104
	v_exp_f32_e32 v5, v5                                       // 000000006260: 7E0A4105
	v_exp_f32_e32 v6, v6                                       // 000000006264: 7E0C4106
	v_exp_f32_e32 v7, v7                                       // 000000006268: 7E0E4107
	v_add_f32_e64 v4, v4, 1.0                                  // 00000000626C: D1010004 0001E504
	v_add_f32_e64 v5, v5, 1.0                                  // 000000006274: D1010005 0001E505
	v_add_f32_e64 v6, v6, 1.0                                  // 00000000627C: D1010006 0001E506
	v_add_f32_e64 v7, v7, 1.0                                  // 000000006284: D1010007 0001E507
	v_rcp_f32_e32 v4, v4                                       // 00000000628C: 7E084504
	v_rcp_f32_e32 v5, v5                                       // 000000006290: 7E0A4505
	v_rcp_f32_e32 v6, v6                                       // 000000006294: 7E0C4506
	v_rcp_f32_e32 v7, v7                                       // 000000006298: 7E0E4507
	v_mul_f32_e32 v136, v136, v4                               // 00000000629C: 0B100988
	v_mul_f32_e32 v137, v137, v5                               // 0000000062A0: 0B120B89
	v_mul_f32_e32 v138, v138, v6                               // 0000000062A4: 0B140D8A
	v_mul_f32_e32 v139, v139, v7                               // 0000000062A8: 0B160F8B
	v_mul_f32_e32 v136, v136, v208                             // 0000000062AC: 0B11A188
	v_mul_f32_e32 v137, v137, v209                             // 0000000062B0: 0B13A389
	v_mul_f32_e32 v138, v138, v210                             // 0000000062B4: 0B15A58A
	v_mul_f32_e32 v139, v139, v211                             // 0000000062B8: 0B17A78B
	v_mul_f32_e64 v4, -v140, s6                                // 0000000062BC: D1050004 20000D8C
	v_mul_f32_e64 v5, -v141, s6                                // 0000000062C4: D1050005 20000D8D
	v_mul_f32_e64 v6, -v142, s6                                // 0000000062CC: D1050006 20000D8E
	v_mul_f32_e64 v7, -v143, s6                                // 0000000062D4: D1050007 20000D8F
	v_exp_f32_e32 v4, v4                                       // 0000000062DC: 7E084104
	v_exp_f32_e32 v5, v5                                       // 0000000062E0: 7E0A4105
	v_exp_f32_e32 v6, v6                                       // 0000000062E4: 7E0C4106
	v_exp_f32_e32 v7, v7                                       // 0000000062E8: 7E0E4107
	v_add_f32_e64 v4, v4, 1.0                                  // 0000000062EC: D1010004 0001E504
	v_add_f32_e64 v5, v5, 1.0                                  // 0000000062F4: D1010005 0001E505
	v_add_f32_e64 v6, v6, 1.0                                  // 0000000062FC: D1010006 0001E506
	v_add_f32_e64 v7, v7, 1.0                                  // 000000006304: D1010007 0001E507
	v_rcp_f32_e32 v4, v4                                       // 00000000630C: 7E084504
	v_rcp_f32_e32 v5, v5                                       // 000000006310: 7E0A4505
	v_rcp_f32_e32 v6, v6                                       // 000000006314: 7E0C4506
	v_rcp_f32_e32 v7, v7                                       // 000000006318: 7E0E4507
	v_mul_f32_e32 v140, v140, v4                               // 00000000631C: 0B18098C
	v_mul_f32_e32 v141, v141, v5                               // 000000006320: 0B1A0B8D
	v_mul_f32_e32 v142, v142, v6                               // 000000006324: 0B1C0D8E
	v_mul_f32_e32 v143, v143, v7                               // 000000006328: 0B1E0F8F
	v_mul_f32_e32 v140, v140, v212                             // 00000000632C: 0B19A98C
	v_mul_f32_e32 v141, v141, v213                             // 000000006330: 0B1BAB8D
	v_mul_f32_e32 v142, v142, v214                             // 000000006334: 0B1DAD8E
	v_mul_f32_e32 v143, v143, v215                             // 000000006338: 0B1FAF8F
	v_mul_f32_e64 v4, -v144, s6                                // 00000000633C: D1050004 20000D90
	v_mul_f32_e64 v5, -v145, s6                                // 000000006344: D1050005 20000D91
	v_mul_f32_e64 v6, -v146, s6                                // 00000000634C: D1050006 20000D92
	v_mul_f32_e64 v7, -v147, s6                                // 000000006354: D1050007 20000D93
	v_exp_f32_e32 v4, v4                                       // 00000000635C: 7E084104
	v_exp_f32_e32 v5, v5                                       // 000000006360: 7E0A4105
	v_exp_f32_e32 v6, v6                                       // 000000006364: 7E0C4106
	v_exp_f32_e32 v7, v7                                       // 000000006368: 7E0E4107
	v_add_f32_e64 v4, v4, 1.0                                  // 00000000636C: D1010004 0001E504
	v_add_f32_e64 v5, v5, 1.0                                  // 000000006374: D1010005 0001E505
	v_add_f32_e64 v6, v6, 1.0                                  // 00000000637C: D1010006 0001E506
	v_add_f32_e64 v7, v7, 1.0                                  // 000000006384: D1010007 0001E507
	v_rcp_f32_e32 v4, v4                                       // 00000000638C: 7E084504
	v_rcp_f32_e32 v5, v5                                       // 000000006390: 7E0A4505
	v_rcp_f32_e32 v6, v6                                       // 000000006394: 7E0C4506
	v_rcp_f32_e32 v7, v7                                       // 000000006398: 7E0E4507
	v_mul_f32_e32 v144, v144, v4                               // 00000000639C: 0B200990
	v_mul_f32_e32 v145, v145, v5                               // 0000000063A0: 0B220B91
	v_mul_f32_e32 v146, v146, v6                               // 0000000063A4: 0B240D92
	v_mul_f32_e32 v147, v147, v7                               // 0000000063A8: 0B260F93
	v_mul_f32_e32 v144, v144, v216                             // 0000000063AC: 0B21B190
	v_mul_f32_e32 v145, v145, v217                             // 0000000063B0: 0B23B391
	v_mul_f32_e32 v146, v146, v218                             // 0000000063B4: 0B25B592
	v_mul_f32_e32 v147, v147, v219                             // 0000000063B8: 0B27B793
	v_mul_f32_e64 v4, -v148, s6                                // 0000000063BC: D1050004 20000D94
	v_mul_f32_e64 v5, -v149, s6                                // 0000000063C4: D1050005 20000D95
	v_mul_f32_e64 v6, -v150, s6                                // 0000000063CC: D1050006 20000D96
	v_mul_f32_e64 v7, -v151, s6                                // 0000000063D4: D1050007 20000D97
	v_exp_f32_e32 v4, v4                                       // 0000000063DC: 7E084104
	v_exp_f32_e32 v5, v5                                       // 0000000063E0: 7E0A4105
	v_exp_f32_e32 v6, v6                                       // 0000000063E4: 7E0C4106
	v_exp_f32_e32 v7, v7                                       // 0000000063E8: 7E0E4107
	v_add_f32_e64 v4, v4, 1.0                                  // 0000000063EC: D1010004 0001E504
	v_add_f32_e64 v5, v5, 1.0                                  // 0000000063F4: D1010005 0001E505
	v_add_f32_e64 v6, v6, 1.0                                  // 0000000063FC: D1010006 0001E506
	v_add_f32_e64 v7, v7, 1.0                                  // 000000006404: D1010007 0001E507
	v_rcp_f32_e32 v4, v4                                       // 00000000640C: 7E084504
	v_rcp_f32_e32 v5, v5                                       // 000000006410: 7E0A4505
	v_rcp_f32_e32 v6, v6                                       // 000000006414: 7E0C4506
	v_rcp_f32_e32 v7, v7                                       // 000000006418: 7E0E4507
	v_mul_f32_e32 v148, v148, v4                               // 00000000641C: 0B280994
	v_mul_f32_e32 v149, v149, v5                               // 000000006420: 0B2A0B95
	v_mul_f32_e32 v150, v150, v6                               // 000000006424: 0B2C0D96
	v_mul_f32_e32 v151, v151, v7                               // 000000006428: 0B2E0F97
	v_mul_f32_e32 v148, v148, v220                             // 00000000642C: 0B29B994
	v_mul_f32_e32 v149, v149, v221                             // 000000006430: 0B2BBB95
	v_mul_f32_e32 v150, v150, v222                             // 000000006434: 0B2DBD96
	v_mul_f32_e32 v151, v151, v223                             // 000000006438: 0B2FBF97
	v_mul_f32_e64 v4, -v152, s6                                // 00000000643C: D1050004 20000D98
	v_mul_f32_e64 v5, -v153, s6                                // 000000006444: D1050005 20000D99
	v_mul_f32_e64 v6, -v154, s6                                // 00000000644C: D1050006 20000D9A
	v_mul_f32_e64 v7, -v155, s6                                // 000000006454: D1050007 20000D9B
	v_exp_f32_e32 v4, v4                                       // 00000000645C: 7E084104
	v_exp_f32_e32 v5, v5                                       // 000000006460: 7E0A4105
	v_exp_f32_e32 v6, v6                                       // 000000006464: 7E0C4106
	v_exp_f32_e32 v7, v7                                       // 000000006468: 7E0E4107
	v_add_f32_e64 v4, v4, 1.0                                  // 00000000646C: D1010004 0001E504
	v_add_f32_e64 v5, v5, 1.0                                  // 000000006474: D1010005 0001E505
	v_add_f32_e64 v6, v6, 1.0                                  // 00000000647C: D1010006 0001E506
	v_add_f32_e64 v7, v7, 1.0                                  // 000000006484: D1010007 0001E507
	v_rcp_f32_e32 v4, v4                                       // 00000000648C: 7E084504
	v_rcp_f32_e32 v5, v5                                       // 000000006490: 7E0A4505
	v_rcp_f32_e32 v6, v6                                       // 000000006494: 7E0C4506
	v_rcp_f32_e32 v7, v7                                       // 000000006498: 7E0E4507
	v_mul_f32_e32 v152, v152, v4                               // 00000000649C: 0B300998
	v_mul_f32_e32 v153, v153, v5                               // 0000000064A0: 0B320B99
	v_mul_f32_e32 v154, v154, v6                               // 0000000064A4: 0B340D9A
	v_mul_f32_e32 v155, v155, v7                               // 0000000064A8: 0B360F9B
	v_mul_f32_e32 v152, v152, v224                             // 0000000064AC: 0B31C198
	v_mul_f32_e32 v153, v153, v225                             // 0000000064B0: 0B33C399
	v_mul_f32_e32 v154, v154, v226                             // 0000000064B4: 0B35C59A
	v_mul_f32_e32 v155, v155, v227                             // 0000000064B8: 0B37C79B

00000000000064bc <label_0EAF>:
	v_cmp_u_f32_e64 s[46:47], v84, v84                         // 0000000064BC: D048002E 0002A954
	v_add3_u32 v16, v84, v19, 1                                // 0000000064C4: D1FF0010 02062754
	v_cndmask_b32_e64 v4, v16, v18, s[46:47]                   // 0000000064CC: D1000004 00BA2510
	v_cmp_u_f32_e64 s[46:47], v85, v85                         // 0000000064D4: D048002E 0002AB55
	v_add3_u32 v16, v85, v19, 1                                // 0000000064DC: D1FF0010 02062755
	v_cndmask_b32_e64 v5, v16, v18, s[46:47]                   // 0000000064E4: D1000005 00BA2510
	v_perm_b32 v84, v5, v4, s52                                // 0000000064EC: D1ED0054 00D20905
	v_cmp_u_f32_e64 s[46:47], v86, v86                         // 0000000064F4: D048002E 0002AD56
	v_add3_u32 v16, v86, v19, 1                                // 0000000064FC: D1FF0010 02062756
	v_cndmask_b32_e64 v4, v16, v18, s[46:47]                   // 000000006504: D1000004 00BA2510
	v_cmp_u_f32_e64 s[46:47], v87, v87                         // 00000000650C: D048002E 0002AF57
	v_add3_u32 v16, v87, v19, 1                                // 000000006514: D1FF0010 02062757
	v_cndmask_b32_e64 v5, v16, v18, s[46:47]                   // 00000000651C: D1000005 00BA2510
	v_perm_b32 v85, v5, v4, s52                                // 000000006524: D1ED0055 00D20905
	v_cmp_u_f32_e64 s[46:47], v88, v88                         // 00000000652C: D048002E 0002B158
	v_add3_u32 v16, v88, v19, 1                                // 000000006534: D1FF0010 02062758
	v_cndmask_b32_e64 v4, v16, v18, s[46:47]                   // 00000000653C: D1000004 00BA2510
	v_cmp_u_f32_e64 s[46:47], v89, v89                         // 000000006544: D048002E 0002B359
	v_add3_u32 v16, v89, v19, 1                                // 00000000654C: D1FF0010 02062759
	v_cndmask_b32_e64 v5, v16, v18, s[46:47]                   // 000000006554: D1000005 00BA2510
	v_perm_b32 v86, v5, v4, s52                                // 00000000655C: D1ED0056 00D20905
	v_cmp_u_f32_e64 s[46:47], v90, v90                         // 000000006564: D048002E 0002B55A
	v_add3_u32 v16, v90, v19, 1                                // 00000000656C: D1FF0010 0206275A
	v_cndmask_b32_e64 v4, v16, v18, s[46:47]                   // 000000006574: D1000004 00BA2510
	v_cmp_u_f32_e64 s[46:47], v91, v91                         // 00000000657C: D048002E 0002B75B
	v_add3_u32 v16, v91, v19, 1                                // 000000006584: D1FF0010 0206275B
	v_cndmask_b32_e64 v5, v16, v18, s[46:47]                   // 00000000658C: D1000005 00BA2510
	v_perm_b32 v87, v5, v4, s52                                // 000000006594: D1ED0057 00D20905
	v_cmp_u_f32_e64 s[46:47], v92, v92                         // 00000000659C: D048002E 0002B95C
	v_add3_u32 v16, v92, v19, 1                                // 0000000065A4: D1FF0010 0206275C
	v_cndmask_b32_e64 v4, v16, v18, s[46:47]                   // 0000000065AC: D1000004 00BA2510
	v_cmp_u_f32_e64 s[46:47], v93, v93                         // 0000000065B4: D048002E 0002BB5D
	v_add3_u32 v16, v93, v19, 1                                // 0000000065BC: D1FF0010 0206275D
	v_cndmask_b32_e64 v5, v16, v18, s[46:47]                   // 0000000065C4: D1000005 00BA2510
	v_perm_b32 v88, v5, v4, s52                                // 0000000065CC: D1ED0058 00D20905
	v_cmp_u_f32_e64 s[46:47], v94, v94                         // 0000000065D4: D048002E 0002BD5E
	v_add3_u32 v16, v94, v19, 1                                // 0000000065DC: D1FF0010 0206275E
	v_cndmask_b32_e64 v4, v16, v18, s[46:47]                   // 0000000065E4: D1000004 00BA2510
	v_cmp_u_f32_e64 s[46:47], v95, v95                         // 0000000065EC: D048002E 0002BF5F
	v_add3_u32 v16, v95, v19, 1                                // 0000000065F4: D1FF0010 0206275F
	v_cndmask_b32_e64 v5, v16, v18, s[46:47]                   // 0000000065FC: D1000005 00BA2510
	v_perm_b32 v89, v5, v4, s52                                // 000000006604: D1ED0059 00D20905
	v_cmp_u_f32_e64 s[46:47], v96, v96                         // 00000000660C: D048002E 0002C160
	v_add3_u32 v16, v96, v19, 1                                // 000000006614: D1FF0010 02062760
	v_cndmask_b32_e64 v4, v16, v18, s[46:47]                   // 00000000661C: D1000004 00BA2510
	v_cmp_u_f32_e64 s[46:47], v97, v97                         // 000000006624: D048002E 0002C361
	v_add3_u32 v16, v97, v19, 1                                // 00000000662C: D1FF0010 02062761
	v_cndmask_b32_e64 v5, v16, v18, s[46:47]                   // 000000006634: D1000005 00BA2510
	v_perm_b32 v90, v5, v4, s52                                // 00000000663C: D1ED005A 00D20905
	v_cmp_u_f32_e64 s[46:47], v98, v98                         // 000000006644: D048002E 0002C562
	v_add3_u32 v16, v98, v19, 1                                // 00000000664C: D1FF0010 02062762
	v_cndmask_b32_e64 v4, v16, v18, s[46:47]                   // 000000006654: D1000004 00BA2510
	v_cmp_u_f32_e64 s[46:47], v99, v99                         // 00000000665C: D048002E 0002C763
	v_add3_u32 v16, v99, v19, 1                                // 000000006664: D1FF0010 02062763
	v_cndmask_b32_e64 v5, v16, v18, s[46:47]                   // 00000000666C: D1000005 00BA2510
	v_perm_b32 v91, v5, v4, s52                                // 000000006674: D1ED005B 00D20905
	v_cmp_u_f32_e64 s[46:47], v100, v100                       // 00000000667C: D048002E 0002C964
	v_add3_u32 v16, v100, v19, 1                               // 000000006684: D1FF0010 02062764
	v_cndmask_b32_e64 v4, v16, v18, s[46:47]                   // 00000000668C: D1000004 00BA2510
	v_cmp_u_f32_e64 s[46:47], v101, v101                       // 000000006694: D048002E 0002CB65
	v_add3_u32 v16, v101, v19, 1                               // 00000000669C: D1FF0010 02062765
	v_cndmask_b32_e64 v5, v16, v18, s[46:47]                   // 0000000066A4: D1000005 00BA2510
	v_perm_b32 v92, v5, v4, s52                                // 0000000066AC: D1ED005C 00D20905
	v_cmp_u_f32_e64 s[46:47], v102, v102                       // 0000000066B4: D048002E 0002CD66
	v_add3_u32 v16, v102, v19, 1                               // 0000000066BC: D1FF0010 02062766
	v_cndmask_b32_e64 v4, v16, v18, s[46:47]                   // 0000000066C4: D1000004 00BA2510
	v_cmp_u_f32_e64 s[46:47], v103, v103                       // 0000000066CC: D048002E 0002CF67
	v_add3_u32 v16, v103, v19, 1                               // 0000000066D4: D1FF0010 02062767
	v_cndmask_b32_e64 v5, v16, v18, s[46:47]                   // 0000000066DC: D1000005 00BA2510
	v_perm_b32 v93, v5, v4, s52                                // 0000000066E4: D1ED005D 00D20905
	v_cmp_u_f32_e64 s[46:47], v104, v104                       // 0000000066EC: D048002E 0002D168
	v_add3_u32 v16, v104, v19, 1                               // 0000000066F4: D1FF0010 02062768
	v_cndmask_b32_e64 v4, v16, v18, s[46:47]                   // 0000000066FC: D1000004 00BA2510
	v_cmp_u_f32_e64 s[46:47], v105, v105                       // 000000006704: D048002E 0002D369
	v_add3_u32 v16, v105, v19, 1                               // 00000000670C: D1FF0010 02062769
	v_cndmask_b32_e64 v5, v16, v18, s[46:47]                   // 000000006714: D1000005 00BA2510
	v_perm_b32 v94, v5, v4, s52                                // 00000000671C: D1ED005E 00D20905
	v_cmp_u_f32_e64 s[46:47], v106, v106                       // 000000006724: D048002E 0002D56A
	v_add3_u32 v16, v106, v19, 1                               // 00000000672C: D1FF0010 0206276A
	v_cndmask_b32_e64 v4, v16, v18, s[46:47]                   // 000000006734: D1000004 00BA2510
	v_cmp_u_f32_e64 s[46:47], v107, v107                       // 00000000673C: D048002E 0002D76B
	v_add3_u32 v16, v107, v19, 1                               // 000000006744: D1FF0010 0206276B
	v_cndmask_b32_e64 v5, v16, v18, s[46:47]                   // 00000000674C: D1000005 00BA2510
	v_perm_b32 v95, v5, v4, s52                                // 000000006754: D1ED005F 00D20905
	v_cmp_u_f32_e64 s[46:47], v108, v108                       // 00000000675C: D048002E 0002D96C
	v_add3_u32 v16, v108, v19, 1                               // 000000006764: D1FF0010 0206276C
	v_cndmask_b32_e64 v4, v16, v18, s[46:47]                   // 00000000676C: D1000004 00BA2510
	v_cmp_u_f32_e64 s[46:47], v109, v109                       // 000000006774: D048002E 0002DB6D
	v_add3_u32 v16, v109, v19, 1                               // 00000000677C: D1FF0010 0206276D
	v_cndmask_b32_e64 v5, v16, v18, s[46:47]                   // 000000006784: D1000005 00BA2510
	v_perm_b32 v96, v5, v4, s52                                // 00000000678C: D1ED0060 00D20905
	v_cmp_u_f32_e64 s[46:47], v110, v110                       // 000000006794: D048002E 0002DD6E
	v_add3_u32 v16, v110, v19, 1                               // 00000000679C: D1FF0010 0206276E
	v_cndmask_b32_e64 v4, v16, v18, s[46:47]                   // 0000000067A4: D1000004 00BA2510
	v_cmp_u_f32_e64 s[46:47], v111, v111                       // 0000000067AC: D048002E 0002DF6F
	v_add3_u32 v16, v111, v19, 1                               // 0000000067B4: D1FF0010 0206276F
	v_cndmask_b32_e64 v5, v16, v18, s[46:47]                   // 0000000067BC: D1000005 00BA2510
	v_perm_b32 v97, v5, v4, s52                                // 0000000067C4: D1ED0061 00D20905
	v_cmp_u_f32_e64 s[46:47], v112, v112                       // 0000000067CC: D048002E 0002E170
	v_add3_u32 v16, v112, v19, 1                               // 0000000067D4: D1FF0010 02062770
	v_cndmask_b32_e64 v4, v16, v18, s[46:47]                   // 0000000067DC: D1000004 00BA2510
	v_cmp_u_f32_e64 s[46:47], v113, v113                       // 0000000067E4: D048002E 0002E371
	v_add3_u32 v16, v113, v19, 1                               // 0000000067EC: D1FF0010 02062771
	v_cndmask_b32_e64 v5, v16, v18, s[46:47]                   // 0000000067F4: D1000005 00BA2510
	v_perm_b32 v98, v5, v4, s52                                // 0000000067FC: D1ED0062 00D20905
	v_cmp_u_f32_e64 s[46:47], v114, v114                       // 000000006804: D048002E 0002E572
	v_add3_u32 v16, v114, v19, 1                               // 00000000680C: D1FF0010 02062772
	v_cndmask_b32_e64 v4, v16, v18, s[46:47]                   // 000000006814: D1000004 00BA2510
	v_cmp_u_f32_e64 s[46:47], v115, v115                       // 00000000681C: D048002E 0002E773
	v_add3_u32 v16, v115, v19, 1                               // 000000006824: D1FF0010 02062773
	v_cndmask_b32_e64 v5, v16, v18, s[46:47]                   // 00000000682C: D1000005 00BA2510
	v_perm_b32 v99, v5, v4, s52                                // 000000006834: D1ED0063 00D20905
	v_cmp_u_f32_e64 s[46:47], v116, v116                       // 00000000683C: D048002E 0002E974
	v_add3_u32 v16, v116, v19, 1                               // 000000006844: D1FF0010 02062774
	v_cndmask_b32_e64 v4, v16, v18, s[46:47]                   // 00000000684C: D1000004 00BA2510
	v_cmp_u_f32_e64 s[46:47], v117, v117                       // 000000006854: D048002E 0002EB75
	v_add3_u32 v16, v117, v19, 1                               // 00000000685C: D1FF0010 02062775
	v_cndmask_b32_e64 v5, v16, v18, s[46:47]                   // 000000006864: D1000005 00BA2510
	v_perm_b32 v100, v5, v4, s52                               // 00000000686C: D1ED0064 00D20905
	v_cmp_u_f32_e64 s[46:47], v118, v118                       // 000000006874: D048002E 0002ED76
	v_add3_u32 v16, v118, v19, 1                               // 00000000687C: D1FF0010 02062776
	v_cndmask_b32_e64 v4, v16, v18, s[46:47]                   // 000000006884: D1000004 00BA2510
	v_cmp_u_f32_e64 s[46:47], v119, v119                       // 00000000688C: D048002E 0002EF77
	v_add3_u32 v16, v119, v19, 1                               // 000000006894: D1FF0010 02062777
	v_cndmask_b32_e64 v5, v16, v18, s[46:47]                   // 00000000689C: D1000005 00BA2510
	v_perm_b32 v101, v5, v4, s52                               // 0000000068A4: D1ED0065 00D20905
	v_cmp_u_f32_e64 s[46:47], v120, v120                       // 0000000068AC: D048002E 0002F178
	v_add3_u32 v16, v120, v19, 1                               // 0000000068B4: D1FF0010 02062778
	v_cndmask_b32_e64 v4, v16, v18, s[46:47]                   // 0000000068BC: D1000004 00BA2510
	v_cmp_u_f32_e64 s[46:47], v121, v121                       // 0000000068C4: D048002E 0002F379
	v_add3_u32 v16, v121, v19, 1                               // 0000000068CC: D1FF0010 02062779
	v_cndmask_b32_e64 v5, v16, v18, s[46:47]                   // 0000000068D4: D1000005 00BA2510
	v_perm_b32 v102, v5, v4, s52                               // 0000000068DC: D1ED0066 00D20905
	v_cmp_u_f32_e64 s[46:47], v122, v122                       // 0000000068E4: D048002E 0002F57A
	v_add3_u32 v16, v122, v19, 1                               // 0000000068EC: D1FF0010 0206277A
	v_cndmask_b32_e64 v4, v16, v18, s[46:47]                   // 0000000068F4: D1000004 00BA2510
	v_cmp_u_f32_e64 s[46:47], v123, v123                       // 0000000068FC: D048002E 0002F77B
	v_add3_u32 v16, v123, v19, 1                               // 000000006904: D1FF0010 0206277B
	v_cndmask_b32_e64 v5, v16, v18, s[46:47]                   // 00000000690C: D1000005 00BA2510
	v_perm_b32 v103, v5, v4, s52                               // 000000006914: D1ED0067 00D20905
	v_cmp_u_f32_e64 s[46:47], v124, v124                       // 00000000691C: D048002E 0002F97C
	v_add3_u32 v16, v124, v19, 1                               // 000000006924: D1FF0010 0206277C
	v_cndmask_b32_e64 v4, v16, v18, s[46:47]                   // 00000000692C: D1000004 00BA2510
	v_cmp_u_f32_e64 s[46:47], v125, v125                       // 000000006934: D048002E 0002FB7D
	v_add3_u32 v16, v125, v19, 1                               // 00000000693C: D1FF0010 0206277D
	v_cndmask_b32_e64 v5, v16, v18, s[46:47]                   // 000000006944: D1000005 00BA2510
	v_perm_b32 v104, v5, v4, s52                               // 00000000694C: D1ED0068 00D20905
	v_cmp_u_f32_e64 s[46:47], v126, v126                       // 000000006954: D048002E 0002FD7E
	v_add3_u32 v16, v126, v19, 1                               // 00000000695C: D1FF0010 0206277E
	v_cndmask_b32_e64 v4, v16, v18, s[46:47]                   // 000000006964: D1000004 00BA2510
	v_cmp_u_f32_e64 s[46:47], v127, v127                       // 00000000696C: D048002E 0002FF7F
	v_add3_u32 v16, v127, v19, 1                               // 000000006974: D1FF0010 0206277F
	v_cndmask_b32_e64 v5, v16, v18, s[46:47]                   // 00000000697C: D1000005 00BA2510
	v_perm_b32 v105, v5, v4, s52                               // 000000006984: D1ED0069 00D20905
	v_cmp_u_f32_e64 s[46:47], v128, v128                       // 00000000698C: D048002E 00030180
	v_add3_u32 v16, v128, v19, 1                               // 000000006994: D1FF0010 02062780
	v_cndmask_b32_e64 v4, v16, v18, s[46:47]                   // 00000000699C: D1000004 00BA2510
	v_cmp_u_f32_e64 s[46:47], v129, v129                       // 0000000069A4: D048002E 00030381
	v_add3_u32 v16, v129, v19, 1                               // 0000000069AC: D1FF0010 02062781
	v_cndmask_b32_e64 v5, v16, v18, s[46:47]                   // 0000000069B4: D1000005 00BA2510
	v_perm_b32 v106, v5, v4, s52                               // 0000000069BC: D1ED006A 00D20905
	v_cmp_u_f32_e64 s[46:47], v130, v130                       // 0000000069C4: D048002E 00030582
	v_add3_u32 v16, v130, v19, 1                               // 0000000069CC: D1FF0010 02062782
	v_cndmask_b32_e64 v4, v16, v18, s[46:47]                   // 0000000069D4: D1000004 00BA2510
	v_cmp_u_f32_e64 s[46:47], v131, v131                       // 0000000069DC: D048002E 00030783
	v_add3_u32 v16, v131, v19, 1                               // 0000000069E4: D1FF0010 02062783
	v_cndmask_b32_e64 v5, v16, v18, s[46:47]                   // 0000000069EC: D1000005 00BA2510
	v_perm_b32 v107, v5, v4, s52                               // 0000000069F4: D1ED006B 00D20905
	v_cmp_u_f32_e64 s[46:47], v132, v132                       // 0000000069FC: D048002E 00030984
	v_add3_u32 v16, v132, v19, 1                               // 000000006A04: D1FF0010 02062784
	v_cndmask_b32_e64 v4, v16, v18, s[46:47]                   // 000000006A0C: D1000004 00BA2510
	v_cmp_u_f32_e64 s[46:47], v133, v133                       // 000000006A14: D048002E 00030B85
	v_add3_u32 v16, v133, v19, 1                               // 000000006A1C: D1FF0010 02062785
	v_cndmask_b32_e64 v5, v16, v18, s[46:47]                   // 000000006A24: D1000005 00BA2510
	v_perm_b32 v108, v5, v4, s52                               // 000000006A2C: D1ED006C 00D20905
	v_cmp_u_f32_e64 s[46:47], v134, v134                       // 000000006A34: D048002E 00030D86
	v_add3_u32 v16, v134, v19, 1                               // 000000006A3C: D1FF0010 02062786
	v_cndmask_b32_e64 v4, v16, v18, s[46:47]                   // 000000006A44: D1000004 00BA2510
	v_cmp_u_f32_e64 s[46:47], v135, v135                       // 000000006A4C: D048002E 00030F87
	v_add3_u32 v16, v135, v19, 1                               // 000000006A54: D1FF0010 02062787
	v_cndmask_b32_e64 v5, v16, v18, s[46:47]                   // 000000006A5C: D1000005 00BA2510
	v_perm_b32 v109, v5, v4, s52                               // 000000006A64: D1ED006D 00D20905
	v_cmp_u_f32_e64 s[46:47], v136, v136                       // 000000006A6C: D048002E 00031188
	v_add3_u32 v16, v136, v19, 1                               // 000000006A74: D1FF0010 02062788
	v_cndmask_b32_e64 v4, v16, v18, s[46:47]                   // 000000006A7C: D1000004 00BA2510
	v_cmp_u_f32_e64 s[46:47], v137, v137                       // 000000006A84: D048002E 00031389
	v_add3_u32 v16, v137, v19, 1                               // 000000006A8C: D1FF0010 02062789
	v_cndmask_b32_e64 v5, v16, v18, s[46:47]                   // 000000006A94: D1000005 00BA2510
	v_perm_b32 v110, v5, v4, s52                               // 000000006A9C: D1ED006E 00D20905
	v_cmp_u_f32_e64 s[46:47], v138, v138                       // 000000006AA4: D048002E 0003158A
	v_add3_u32 v16, v138, v19, 1                               // 000000006AAC: D1FF0010 0206278A
	v_cndmask_b32_e64 v4, v16, v18, s[46:47]                   // 000000006AB4: D1000004 00BA2510
	v_cmp_u_f32_e64 s[46:47], v139, v139                       // 000000006ABC: D048002E 0003178B
	v_add3_u32 v16, v139, v19, 1                               // 000000006AC4: D1FF0010 0206278B
	v_cndmask_b32_e64 v5, v16, v18, s[46:47]                   // 000000006ACC: D1000005 00BA2510
	v_perm_b32 v111, v5, v4, s52                               // 000000006AD4: D1ED006F 00D20905
	v_cmp_u_f32_e64 s[46:47], v140, v140                       // 000000006ADC: D048002E 0003198C
	v_add3_u32 v16, v140, v19, 1                               // 000000006AE4: D1FF0010 0206278C
	v_cndmask_b32_e64 v4, v16, v18, s[46:47]                   // 000000006AEC: D1000004 00BA2510
	v_cmp_u_f32_e64 s[46:47], v141, v141                       // 000000006AF4: D048002E 00031B8D
	v_add3_u32 v16, v141, v19, 1                               // 000000006AFC: D1FF0010 0206278D
	v_cndmask_b32_e64 v5, v16, v18, s[46:47]                   // 000000006B04: D1000005 00BA2510
	v_perm_b32 v112, v5, v4, s52                               // 000000006B0C: D1ED0070 00D20905
	v_cmp_u_f32_e64 s[46:47], v142, v142                       // 000000006B14: D048002E 00031D8E
	v_add3_u32 v16, v142, v19, 1                               // 000000006B1C: D1FF0010 0206278E
	v_cndmask_b32_e64 v4, v16, v18, s[46:47]                   // 000000006B24: D1000004 00BA2510
	v_cmp_u_f32_e64 s[46:47], v143, v143                       // 000000006B2C: D048002E 00031F8F
	v_add3_u32 v16, v143, v19, 1                               // 000000006B34: D1FF0010 0206278F
	v_cndmask_b32_e64 v5, v16, v18, s[46:47]                   // 000000006B3C: D1000005 00BA2510
	v_perm_b32 v113, v5, v4, s52                               // 000000006B44: D1ED0071 00D20905
	v_cmp_u_f32_e64 s[46:47], v144, v144                       // 000000006B4C: D048002E 00032190
	v_add3_u32 v16, v144, v19, 1                               // 000000006B54: D1FF0010 02062790
	v_cndmask_b32_e64 v4, v16, v18, s[46:47]                   // 000000006B5C: D1000004 00BA2510
	v_cmp_u_f32_e64 s[46:47], v145, v145                       // 000000006B64: D048002E 00032391
	v_add3_u32 v16, v145, v19, 1                               // 000000006B6C: D1FF0010 02062791
	v_cndmask_b32_e64 v5, v16, v18, s[46:47]                   // 000000006B74: D1000005 00BA2510
	v_perm_b32 v114, v5, v4, s52                               // 000000006B7C: D1ED0072 00D20905
	v_cmp_u_f32_e64 s[46:47], v146, v146                       // 000000006B84: D048002E 00032592
	v_add3_u32 v16, v146, v19, 1                               // 000000006B8C: D1FF0010 02062792
	v_cndmask_b32_e64 v4, v16, v18, s[46:47]                   // 000000006B94: D1000004 00BA2510
	v_cmp_u_f32_e64 s[46:47], v147, v147                       // 000000006B9C: D048002E 00032793
	v_add3_u32 v16, v147, v19, 1                               // 000000006BA4: D1FF0010 02062793
	v_cndmask_b32_e64 v5, v16, v18, s[46:47]                   // 000000006BAC: D1000005 00BA2510
	v_perm_b32 v115, v5, v4, s52                               // 000000006BB4: D1ED0073 00D20905
	v_cmp_u_f32_e64 s[46:47], v148, v148                       // 000000006BBC: D048002E 00032994
	v_add3_u32 v16, v148, v19, 1                               // 000000006BC4: D1FF0010 02062794
	v_cndmask_b32_e64 v4, v16, v18, s[46:47]                   // 000000006BCC: D1000004 00BA2510
	v_cmp_u_f32_e64 s[46:47], v149, v149                       // 000000006BD4: D048002E 00032B95
	v_add3_u32 v16, v149, v19, 1                               // 000000006BDC: D1FF0010 02062795
	v_cndmask_b32_e64 v5, v16, v18, s[46:47]                   // 000000006BE4: D1000005 00BA2510
	v_perm_b32 v116, v5, v4, s52                               // 000000006BEC: D1ED0074 00D20905
	v_cmp_u_f32_e64 s[46:47], v150, v150                       // 000000006BF4: D048002E 00032D96
	v_add3_u32 v16, v150, v19, 1                               // 000000006BFC: D1FF0010 02062796
	v_cndmask_b32_e64 v4, v16, v18, s[46:47]                   // 000000006C04: D1000004 00BA2510
	v_cmp_u_f32_e64 s[46:47], v151, v151                       // 000000006C0C: D048002E 00032F97
	v_add3_u32 v16, v151, v19, 1                               // 000000006C14: D1FF0010 02062797
	v_cndmask_b32_e64 v5, v16, v18, s[46:47]                   // 000000006C1C: D1000005 00BA2510
	v_perm_b32 v117, v5, v4, s52                               // 000000006C24: D1ED0075 00D20905
	v_cmp_u_f32_e64 s[46:47], v152, v152                       // 000000006C2C: D048002E 00033198
	v_add3_u32 v16, v152, v19, 1                               // 000000006C34: D1FF0010 02062798
	v_cndmask_b32_e64 v4, v16, v18, s[46:47]                   // 000000006C3C: D1000004 00BA2510
	v_cmp_u_f32_e64 s[46:47], v153, v153                       // 000000006C44: D048002E 00033399
	v_add3_u32 v16, v153, v19, 1                               // 000000006C4C: D1FF0010 02062799
	v_cndmask_b32_e64 v5, v16, v18, s[46:47]                   // 000000006C54: D1000005 00BA2510
	v_perm_b32 v118, v5, v4, s52                               // 000000006C5C: D1ED0076 00D20905
	v_cmp_u_f32_e64 s[46:47], v154, v154                       // 000000006C64: D048002E 0003359A
	v_add3_u32 v16, v154, v19, 1                               // 000000006C6C: D1FF0010 0206279A
	v_cndmask_b32_e64 v4, v16, v18, s[46:47]                   // 000000006C74: D1000004 00BA2510
	v_cmp_u_f32_e64 s[46:47], v155, v155                       // 000000006C7C: D048002E 0003379B
	v_add3_u32 v16, v155, v19, 1                               // 000000006C84: D1FF0010 0206279B
	v_cndmask_b32_e64 v5, v16, v18, s[46:47]                   // 000000006C8C: D1000005 00BA2510
	v_perm_b32 v119, v5, v4, s52                               // 000000006C94: D1ED0077 00D20905
	ds_write_b64 v20, v[84:85]                                 // 000000006C9C: D89A0000 00005414
	ds_write_b64 v20, v[86:87] offset:4352                     // 000000006CA4: D89A1100 00005614
	ds_write_b64 v20, v[88:89] offset:8704                     // 000000006CAC: D89A2200 00005814
	ds_write_b64 v20, v[90:91] offset:13056                    // 000000006CB4: D89A3300 00005A14
	ds_write_b64 v20, v[92:93] offset:17408                    // 000000006CBC: D89A4400 00005C14
	ds_write_b64 v20, v[94:95] offset:21760                    // 000000006CC4: D89A5500 00005E14
	ds_write_b64 v20, v[96:97] offset:26112                    // 000000006CCC: D89A6600 00006014
	ds_write_b64 v20, v[98:99] offset:30464                    // 000000006CD4: D89A7700 00006214
	ds_write_b64 v20, v[100:101] offset:34816                  // 000000006CDC: D89A8800 00006414
	ds_write_b64 v20, v[102:103] offset:2176                   // 000000006CE4: D89A0880 00006614
	ds_write_b64 v20, v[104:105] offset:6528                   // 000000006CEC: D89A1980 00006814
	ds_write_b64 v20, v[106:107] offset:10880                  // 000000006CF4: D89A2A80 00006A14
	ds_write_b64 v20, v[108:109] offset:15232                  // 000000006CFC: D89A3B80 00006C14
	ds_write_b64 v20, v[110:111] offset:19584                  // 000000006D04: D89A4C80 00006E14
	ds_write_b64 v20, v[112:113] offset:23936                  // 000000006D0C: D89A5D80 00007014
	ds_write_b64 v20, v[114:115] offset:28288                  // 000000006D14: D89A6E80 00007214
	ds_write_b64 v20, v[116:117] offset:32640                  // 000000006D1C: D89A7F80 00007414
	ds_write_b64 v20, v[118:119] offset:36992                  // 000000006D24: D89A9080 00007614
	v_lshrrev_b32_e32 v4, 5, v0                                // 000000006D2C: 20080085
	v_xor_b32_e32 v5, 1, v4                                    // 000000006D30: 2A0A0881
	s_mul_i32 s60, s65, 2                                      // 000000006D34: 923C8241
	s_cmp_eq_u32 s88, 0                                        // 000000006D38: BF068058
	s_cselect_b32 s61, 1, 4                                    // 000000006D3C: 853D8481
	s_mul_i32 s60, s61, s60                                    // 000000006D40: 923C3C3D
	v_readlane_b32 s82, v3, 0                                  // 000000006D44: D2890052 00010103
	s_lshr_b32 s61, s82, 24                                    // 000000006D4C: 8F3D9852
	s_and_b32 s82, s82, 0xffffff                               // 000000006D50: 8652FF52 00FFFFFF
	s_mul_i32 s82, s82, s71                                    // 000000006D58: 92524752
	s_mul_i32 s61, s60, s61                                    // 000000006D5C: 923D3D3C
	s_add_u32 s82, s82, s61                                    // 000000006D60: 80523D52
	v_mul_lo_u32 v6, v5, s82                                   // 000000006D64: D2850006 0000A505
	v_readlane_b32 s82, v3, 1                                  // 000000006D6C: D2890052 00010303
	s_lshr_b32 s61, s82, 24                                    // 000000006D74: 8F3D9852
	s_and_b32 s82, s82, 0xffffff                               // 000000006D78: 8652FF52 00FFFFFF
	s_mul_i32 s82, s82, s71                                    // 000000006D80: 92524752
	s_mul_i32 s61, s60, s61                                    // 000000006D84: 923D3D3C
	s_add_u32 s82, s82, s61                                    // 000000006D88: 80523D52
	v_mul_lo_u32 v7, v4, s82                                   // 000000006D8C: D2850007 0000A504
	v_add_u32_e32 v64, v6, v7                                  // 000000006D94: 68800F06
	v_readlane_b32 s82, v3, 2                                  // 000000006D98: D2890052 00010503
	s_lshr_b32 s61, s82, 24                                    // 000000006DA0: 8F3D9852
	s_and_b32 s82, s82, 0xffffff                               // 000000006DA4: 8652FF52 00FFFFFF
	s_mul_i32 s82, s82, s71                                    // 000000006DAC: 92524752
	s_mul_i32 s61, s60, s61                                    // 000000006DB0: 923D3D3C
	s_add_u32 s82, s82, s61                                    // 000000006DB4: 80523D52
	v_mul_lo_u32 v6, v5, s82                                   // 000000006DB8: D2850006 0000A505
	v_readlane_b32 s82, v3, 3                                  // 000000006DC0: D2890052 00010703
	s_lshr_b32 s61, s82, 24                                    // 000000006DC8: 8F3D9852
	s_and_b32 s82, s82, 0xffffff                               // 000000006DCC: 8652FF52 00FFFFFF
	s_mul_i32 s82, s82, s71                                    // 000000006DD4: 92524752
	s_mul_i32 s61, s60, s61                                    // 000000006DD8: 923D3D3C
	s_add_u32 s82, s82, s61                                    // 000000006DDC: 80523D52
	v_mul_lo_u32 v7, v4, s82                                   // 000000006DE0: D2850007 0000A504
	v_add_u32_e32 v65, v6, v7                                  // 000000006DE8: 68820F06
	v_readlane_b32 s82, v3, 4                                  // 000000006DEC: D2890052 00010903
	s_lshr_b32 s61, s82, 24                                    // 000000006DF4: 8F3D9852
	s_and_b32 s82, s82, 0xffffff                               // 000000006DF8: 8652FF52 00FFFFFF
	s_mul_i32 s82, s82, s71                                    // 000000006E00: 92524752
	s_mul_i32 s61, s60, s61                                    // 000000006E04: 923D3D3C
	s_add_u32 s82, s82, s61                                    // 000000006E08: 80523D52
	v_mul_lo_u32 v6, v5, s82                                   // 000000006E0C: D2850006 0000A505
	v_readlane_b32 s82, v3, 5                                  // 000000006E14: D2890052 00010B03
	s_lshr_b32 s61, s82, 24                                    // 000000006E1C: 8F3D9852
	s_and_b32 s82, s82, 0xffffff                               // 000000006E20: 8652FF52 00FFFFFF
	s_mul_i32 s82, s82, s71                                    // 000000006E28: 92524752
	s_mul_i32 s61, s60, s61                                    // 000000006E2C: 923D3D3C
	s_add_u32 s82, s82, s61                                    // 000000006E30: 80523D52
	v_mul_lo_u32 v7, v4, s82                                   // 000000006E34: D2850007 0000A504
	v_add_u32_e32 v66, v6, v7                                  // 000000006E3C: 68840F06
	v_readlane_b32 s82, v3, 6                                  // 000000006E40: D2890052 00010D03
	s_lshr_b32 s61, s82, 24                                    // 000000006E48: 8F3D9852
	s_and_b32 s82, s82, 0xffffff                               // 000000006E4C: 8652FF52 00FFFFFF
	s_mul_i32 s82, s82, s71                                    // 000000006E54: 92524752
	s_mul_i32 s61, s60, s61                                    // 000000006E58: 923D3D3C
	s_add_u32 s82, s82, s61                                    // 000000006E5C: 80523D52
	v_mul_lo_u32 v6, v5, s82                                   // 000000006E60: D2850006 0000A505
	v_readlane_b32 s82, v3, 7                                  // 000000006E68: D2890052 00010F03
	s_lshr_b32 s61, s82, 24                                    // 000000006E70: 8F3D9852
	s_and_b32 s82, s82, 0xffffff                               // 000000006E74: 8652FF52 00FFFFFF
	s_mul_i32 s82, s82, s71                                    // 000000006E7C: 92524752
	s_mul_i32 s61, s60, s61                                    // 000000006E80: 923D3D3C
	s_add_u32 s82, s82, s61                                    // 000000006E84: 80523D52
	v_mul_lo_u32 v7, v4, s82                                   // 000000006E88: D2850007 0000A504
	v_add_u32_e32 v67, v6, v7                                  // 000000006E90: 68860F06
	v_readlane_b32 s82, v3, 8                                  // 000000006E94: D2890052 00011103
	s_lshr_b32 s61, s82, 24                                    // 000000006E9C: 8F3D9852
	s_and_b32 s82, s82, 0xffffff                               // 000000006EA0: 8652FF52 00FFFFFF
	s_mul_i32 s82, s82, s71                                    // 000000006EA8: 92524752
	s_mul_i32 s61, s60, s61                                    // 000000006EAC: 923D3D3C
	s_add_u32 s82, s82, s61                                    // 000000006EB0: 80523D52
	v_mul_lo_u32 v6, v5, s82                                   // 000000006EB4: D2850006 0000A505
	v_readlane_b32 s82, v3, 9                                  // 000000006EBC: D2890052 00011303
	s_lshr_b32 s61, s82, 24                                    // 000000006EC4: 8F3D9852
	s_and_b32 s82, s82, 0xffffff                               // 000000006EC8: 8652FF52 00FFFFFF
	s_mul_i32 s82, s82, s71                                    // 000000006ED0: 92524752
	s_mul_i32 s61, s60, s61                                    // 000000006ED4: 923D3D3C
	s_add_u32 s82, s82, s61                                    // 000000006ED8: 80523D52
	v_mul_lo_u32 v7, v4, s82                                   // 000000006EDC: D2850007 0000A504
	v_add_u32_e32 v68, v6, v7                                  // 000000006EE4: 68880F06
	v_readlane_b32 s82, v3, 10                                 // 000000006EE8: D2890052 00011503
	s_lshr_b32 s61, s82, 24                                    // 000000006EF0: 8F3D9852
	s_and_b32 s82, s82, 0xffffff                               // 000000006EF4: 8652FF52 00FFFFFF
	s_mul_i32 s82, s82, s71                                    // 000000006EFC: 92524752
	s_mul_i32 s61, s60, s61                                    // 000000006F00: 923D3D3C
	s_add_u32 s82, s82, s61                                    // 000000006F04: 80523D52
	v_mul_lo_u32 v6, v5, s82                                   // 000000006F08: D2850006 0000A505
	v_readlane_b32 s82, v3, 11                                 // 000000006F10: D2890052 00011703
	s_lshr_b32 s61, s82, 24                                    // 000000006F18: 8F3D9852
	s_and_b32 s82, s82, 0xffffff                               // 000000006F1C: 8652FF52 00FFFFFF
	s_mul_i32 s82, s82, s71                                    // 000000006F24: 92524752
	s_mul_i32 s61, s60, s61                                    // 000000006F28: 923D3D3C
	s_add_u32 s82, s82, s61                                    // 000000006F2C: 80523D52
	v_mul_lo_u32 v7, v4, s82                                   // 000000006F30: D2850007 0000A504
	v_add_u32_e32 v69, v6, v7                                  // 000000006F38: 688A0F06
	v_readlane_b32 s82, v3, 12                                 // 000000006F3C: D2890052 00011903
	s_lshr_b32 s61, s82, 24                                    // 000000006F44: 8F3D9852
	s_and_b32 s82, s82, 0xffffff                               // 000000006F48: 8652FF52 00FFFFFF
	s_mul_i32 s82, s82, s71                                    // 000000006F50: 92524752
	s_mul_i32 s61, s60, s61                                    // 000000006F54: 923D3D3C
	s_add_u32 s82, s82, s61                                    // 000000006F58: 80523D52
	v_mul_lo_u32 v6, v5, s82                                   // 000000006F5C: D2850006 0000A505
	v_readlane_b32 s82, v3, 13                                 // 000000006F64: D2890052 00011B03
	s_lshr_b32 s61, s82, 24                                    // 000000006F6C: 8F3D9852
	s_and_b32 s82, s82, 0xffffff                               // 000000006F70: 8652FF52 00FFFFFF
	s_mul_i32 s82, s82, s71                                    // 000000006F78: 92524752
	s_mul_i32 s61, s60, s61                                    // 000000006F7C: 923D3D3C
	s_add_u32 s82, s82, s61                                    // 000000006F80: 80523D52
	v_mul_lo_u32 v7, v4, s82                                   // 000000006F84: D2850007 0000A504
	v_add_u32_e32 v70, v6, v7                                  // 000000006F8C: 688C0F06
	v_readlane_b32 s82, v3, 14                                 // 000000006F90: D2890052 00011D03
	s_lshr_b32 s61, s82, 24                                    // 000000006F98: 8F3D9852
	s_and_b32 s82, s82, 0xffffff                               // 000000006F9C: 8652FF52 00FFFFFF
	s_mul_i32 s82, s82, s71                                    // 000000006FA4: 92524752
	s_mul_i32 s61, s60, s61                                    // 000000006FA8: 923D3D3C
	s_add_u32 s82, s82, s61                                    // 000000006FAC: 80523D52
	v_mul_lo_u32 v6, v5, s82                                   // 000000006FB0: D2850006 0000A505
	v_readlane_b32 s82, v3, 15                                 // 000000006FB8: D2890052 00011F03
	s_lshr_b32 s61, s82, 24                                    // 000000006FC0: 8F3D9852
	s_and_b32 s82, s82, 0xffffff                               // 000000006FC4: 8652FF52 00FFFFFF
	s_mul_i32 s82, s82, s71                                    // 000000006FCC: 92524752
	s_mul_i32 s61, s60, s61                                    // 000000006FD0: 923D3D3C
	s_add_u32 s82, s82, s61                                    // 000000006FD4: 80523D52
	v_mul_lo_u32 v7, v4, s82                                   // 000000006FD8: D2850007 0000A504
	v_add_u32_e32 v71, v6, v7                                  // 000000006FE0: 688E0F06
	v_readlane_b32 s82, v3, 16                                 // 000000006FE4: D2890052 00012103
	s_lshr_b32 s61, s82, 24                                    // 000000006FEC: 8F3D9852
	s_and_b32 s82, s82, 0xffffff                               // 000000006FF0: 8652FF52 00FFFFFF
	s_mul_i32 s82, s82, s71                                    // 000000006FF8: 92524752
	s_mul_i32 s61, s60, s61                                    // 000000006FFC: 923D3D3C
	s_add_u32 s82, s82, s61                                    // 000000007000: 80523D52
	v_mul_lo_u32 v6, v5, s82                                   // 000000007004: D2850006 0000A505
	v_readlane_b32 s82, v3, 17                                 // 00000000700C: D2890052 00012303
	s_lshr_b32 s61, s82, 24                                    // 000000007014: 8F3D9852
	s_and_b32 s82, s82, 0xffffff                               // 000000007018: 8652FF52 00FFFFFF
	s_mul_i32 s82, s82, s71                                    // 000000007020: 92524752
	s_mul_i32 s61, s60, s61                                    // 000000007024: 923D3D3C
	s_add_u32 s82, s82, s61                                    // 000000007028: 80523D52
	v_mul_lo_u32 v7, v4, s82                                   // 00000000702C: D2850007 0000A504
	v_add_u32_e32 v72, v6, v7                                  // 000000007034: 68900F06
	v_readlane_b32 s82, v3, 18                                 // 000000007038: D2890052 00012503
	s_lshr_b32 s61, s82, 24                                    // 000000007040: 8F3D9852
	s_and_b32 s82, s82, 0xffffff                               // 000000007044: 8652FF52 00FFFFFF
	s_mul_i32 s82, s82, s71                                    // 00000000704C: 92524752
	s_mul_i32 s61, s60, s61                                    // 000000007050: 923D3D3C
	s_add_u32 s82, s82, s61                                    // 000000007054: 80523D52
	v_mul_lo_u32 v6, v5, s82                                   // 000000007058: D2850006 0000A505
	v_readlane_b32 s82, v3, 19                                 // 000000007060: D2890052 00012703
	s_lshr_b32 s61, s82, 24                                    // 000000007068: 8F3D9852
	s_and_b32 s82, s82, 0xffffff                               // 00000000706C: 8652FF52 00FFFFFF
	s_mul_i32 s82, s82, s71                                    // 000000007074: 92524752
	s_mul_i32 s61, s60, s61                                    // 000000007078: 923D3D3C
	s_add_u32 s82, s82, s61                                    // 00000000707C: 80523D52
	v_mul_lo_u32 v7, v4, s82                                   // 000000007080: D2850007 0000A504
	v_add_u32_e32 v73, v6, v7                                  // 000000007088: 68920F06
	v_readlane_b32 s82, v3, 20                                 // 00000000708C: D2890052 00012903
	s_lshr_b32 s61, s82, 24                                    // 000000007094: 8F3D9852
	s_and_b32 s82, s82, 0xffffff                               // 000000007098: 8652FF52 00FFFFFF
	s_mul_i32 s82, s82, s71                                    // 0000000070A0: 92524752
	s_mul_i32 s61, s60, s61                                    // 0000000070A4: 923D3D3C
	s_add_u32 s82, s82, s61                                    // 0000000070A8: 80523D52
	v_mul_lo_u32 v6, v5, s82                                   // 0000000070AC: D2850006 0000A505
	v_readlane_b32 s82, v3, 21                                 // 0000000070B4: D2890052 00012B03
	s_lshr_b32 s61, s82, 24                                    // 0000000070BC: 8F3D9852
	s_and_b32 s82, s82, 0xffffff                               // 0000000070C0: 8652FF52 00FFFFFF
	s_mul_i32 s82, s82, s71                                    // 0000000070C8: 92524752
	s_mul_i32 s61, s60, s61                                    // 0000000070CC: 923D3D3C
	s_add_u32 s82, s82, s61                                    // 0000000070D0: 80523D52
	v_mul_lo_u32 v7, v4, s82                                   // 0000000070D4: D2850007 0000A504
	v_add_u32_e32 v74, v6, v7                                  // 0000000070DC: 68940F06
	v_readlane_b32 s82, v3, 22                                 // 0000000070E0: D2890052 00012D03
	s_lshr_b32 s61, s82, 24                                    // 0000000070E8: 8F3D9852
	s_and_b32 s82, s82, 0xffffff                               // 0000000070EC: 8652FF52 00FFFFFF
	s_mul_i32 s82, s82, s71                                    // 0000000070F4: 92524752
	s_mul_i32 s61, s60, s61                                    // 0000000070F8: 923D3D3C
	s_add_u32 s82, s82, s61                                    // 0000000070FC: 80523D52
	v_mul_lo_u32 v6, v5, s82                                   // 000000007100: D2850006 0000A505
	v_readlane_b32 s82, v3, 23                                 // 000000007108: D2890052 00012F03
	s_lshr_b32 s61, s82, 24                                    // 000000007110: 8F3D9852
	s_and_b32 s82, s82, 0xffffff                               // 000000007114: 8652FF52 00FFFFFF
	s_mul_i32 s82, s82, s71                                    // 00000000711C: 92524752
	s_mul_i32 s61, s60, s61                                    // 000000007120: 923D3D3C
	s_add_u32 s82, s82, s61                                    // 000000007124: 80523D52
	v_mul_lo_u32 v7, v4, s82                                   // 000000007128: D2850007 0000A504
	v_add_u32_e32 v75, v6, v7                                  // 000000007130: 68960F06
	v_readlane_b32 s82, v3, 24                                 // 000000007134: D2890052 00013103
	s_lshr_b32 s61, s82, 24                                    // 00000000713C: 8F3D9852
	s_and_b32 s82, s82, 0xffffff                               // 000000007140: 8652FF52 00FFFFFF
	s_mul_i32 s82, s82, s71                                    // 000000007148: 92524752
	s_mul_i32 s61, s60, s61                                    // 00000000714C: 923D3D3C
	s_add_u32 s82, s82, s61                                    // 000000007150: 80523D52
	v_mul_lo_u32 v6, v5, s82                                   // 000000007154: D2850006 0000A505
	v_readlane_b32 s82, v3, 25                                 // 00000000715C: D2890052 00013303
	s_lshr_b32 s61, s82, 24                                    // 000000007164: 8F3D9852
	s_and_b32 s82, s82, 0xffffff                               // 000000007168: 8652FF52 00FFFFFF
	s_mul_i32 s82, s82, s71                                    // 000000007170: 92524752
	s_mul_i32 s61, s60, s61                                    // 000000007174: 923D3D3C
	s_add_u32 s82, s82, s61                                    // 000000007178: 80523D52
	v_mul_lo_u32 v7, v4, s82                                   // 00000000717C: D2850007 0000A504
	v_add_u32_e32 v76, v6, v7                                  // 000000007184: 68980F06
	v_readlane_b32 s82, v3, 26                                 // 000000007188: D2890052 00013503
	s_lshr_b32 s61, s82, 24                                    // 000000007190: 8F3D9852
	s_and_b32 s82, s82, 0xffffff                               // 000000007194: 8652FF52 00FFFFFF
	s_mul_i32 s82, s82, s71                                    // 00000000719C: 92524752
	s_mul_i32 s61, s60, s61                                    // 0000000071A0: 923D3D3C
	s_add_u32 s82, s82, s61                                    // 0000000071A4: 80523D52
	v_mul_lo_u32 v6, v5, s82                                   // 0000000071A8: D2850006 0000A505
	v_readlane_b32 s82, v3, 27                                 // 0000000071B0: D2890052 00013703
	s_lshr_b32 s61, s82, 24                                    // 0000000071B8: 8F3D9852
	s_and_b32 s82, s82, 0xffffff                               // 0000000071BC: 8652FF52 00FFFFFF
	s_mul_i32 s82, s82, s71                                    // 0000000071C4: 92524752
	s_mul_i32 s61, s60, s61                                    // 0000000071C8: 923D3D3C
	s_add_u32 s82, s82, s61                                    // 0000000071CC: 80523D52
	v_mul_lo_u32 v7, v4, s82                                   // 0000000071D0: D2850007 0000A504
	v_add_u32_e32 v77, v6, v7                                  // 0000000071D8: 689A0F06
	v_readlane_b32 s82, v3, 28                                 // 0000000071DC: D2890052 00013903
	s_lshr_b32 s61, s82, 24                                    // 0000000071E4: 8F3D9852
	s_and_b32 s82, s82, 0xffffff                               // 0000000071E8: 8652FF52 00FFFFFF
	s_mul_i32 s82, s82, s71                                    // 0000000071F0: 92524752
	s_mul_i32 s61, s60, s61                                    // 0000000071F4: 923D3D3C
	s_add_u32 s82, s82, s61                                    // 0000000071F8: 80523D52
	v_mul_lo_u32 v6, v5, s82                                   // 0000000071FC: D2850006 0000A505
	v_readlane_b32 s82, v3, 29                                 // 000000007204: D2890052 00013B03
	s_lshr_b32 s61, s82, 24                                    // 00000000720C: 8F3D9852
	s_and_b32 s82, s82, 0xffffff                               // 000000007210: 8652FF52 00FFFFFF
	s_mul_i32 s82, s82, s71                                    // 000000007218: 92524752
	s_mul_i32 s61, s60, s61                                    // 00000000721C: 923D3D3C
	s_add_u32 s82, s82, s61                                    // 000000007220: 80523D52
	v_mul_lo_u32 v7, v4, s82                                   // 000000007224: D2850007 0000A504
	v_add_u32_e32 v78, v6, v7                                  // 00000000722C: 689C0F06
	v_readlane_b32 s82, v3, 30                                 // 000000007230: D2890052 00013D03
	s_lshr_b32 s61, s82, 24                                    // 000000007238: 8F3D9852
	s_and_b32 s82, s82, 0xffffff                               // 00000000723C: 8652FF52 00FFFFFF
	s_mul_i32 s82, s82, s71                                    // 000000007244: 92524752
	s_mul_i32 s61, s60, s61                                    // 000000007248: 923D3D3C
	s_add_u32 s82, s82, s61                                    // 00000000724C: 80523D52
	v_mul_lo_u32 v6, v5, s82                                   // 000000007250: D2850006 0000A505
	v_readlane_b32 s82, v3, 31                                 // 000000007258: D2890052 00013F03
	s_lshr_b32 s61, s82, 24                                    // 000000007260: 8F3D9852
	s_and_b32 s82, s82, 0xffffff                               // 000000007264: 8652FF52 00FFFFFF
	s_mul_i32 s82, s82, s71                                    // 00000000726C: 92524752
	s_mul_i32 s61, s60, s61                                    // 000000007270: 923D3D3C
	s_add_u32 s82, s82, s61                                    // 000000007274: 80523D52
	v_mul_lo_u32 v7, v4, s82                                   // 000000007278: D2850007 0000A504
	v_add_u32_e32 v79, v6, v7                                  // 000000007280: 689E0F06
	v_readlane_b32 s82, v3, 32                                 // 000000007284: D2890052 00014103
	s_lshr_b32 s61, s82, 24                                    // 00000000728C: 8F3D9852
	s_and_b32 s82, s82, 0xffffff                               // 000000007290: 8652FF52 00FFFFFF
	s_mul_i32 s82, s82, s71                                    // 000000007298: 92524752
	s_mul_i32 s61, s60, s61                                    // 00000000729C: 923D3D3C
	s_add_u32 s82, s82, s61                                    // 0000000072A0: 80523D52
	v_mul_lo_u32 v6, v5, s82                                   // 0000000072A4: D2850006 0000A505
	v_readlane_b32 s82, v3, 33                                 // 0000000072AC: D2890052 00014303
	s_lshr_b32 s61, s82, 24                                    // 0000000072B4: 8F3D9852
	s_and_b32 s82, s82, 0xffffff                               // 0000000072B8: 8652FF52 00FFFFFF
	s_mul_i32 s82, s82, s71                                    // 0000000072C0: 92524752
	s_mul_i32 s61, s60, s61                                    // 0000000072C4: 923D3D3C
	s_add_u32 s82, s82, s61                                    // 0000000072C8: 80523D52
	v_mul_lo_u32 v7, v4, s82                                   // 0000000072CC: D2850007 0000A504
	v_add_u32_e32 v80, v6, v7                                  // 0000000072D4: 68A00F06
	v_readlane_b32 s82, v3, 34                                 // 0000000072D8: D2890052 00014503
	s_lshr_b32 s61, s82, 24                                    // 0000000072E0: 8F3D9852
	s_and_b32 s82, s82, 0xffffff                               // 0000000072E4: 8652FF52 00FFFFFF
	s_mul_i32 s82, s82, s71                                    // 0000000072EC: 92524752
	s_mul_i32 s61, s60, s61                                    // 0000000072F0: 923D3D3C
	s_add_u32 s82, s82, s61                                    // 0000000072F4: 80523D52
	v_mul_lo_u32 v6, v5, s82                                   // 0000000072F8: D2850006 0000A505
	v_readlane_b32 s82, v3, 35                                 // 000000007300: D2890052 00014703
	s_lshr_b32 s61, s82, 24                                    // 000000007308: 8F3D9852
	s_and_b32 s82, s82, 0xffffff                               // 00000000730C: 8652FF52 00FFFFFF
	s_mul_i32 s82, s82, s71                                    // 000000007314: 92524752
	s_mul_i32 s61, s60, s61                                    // 000000007318: 923D3D3C
	s_add_u32 s82, s82, s61                                    // 00000000731C: 80523D52
	v_mul_lo_u32 v7, v4, s82                                   // 000000007320: D2850007 0000A504
	v_add_u32_e32 v81, v6, v7                                  // 000000007328: 68A20F06
	v_and_b32_e32 v4, 31, v0                                   // 00000000732C: 2608009F
	v_lshrrev_b32_e32 v4, 1, v4                                // 000000007330: 20080881
	s_cmp_eq_u32 s88, 0                                        // 000000007334: BF068058
	s_cselect_b32 s61, 2, 4                                    // 000000007338: 853D8482
	v_mul_lo_u32 v4, v4, s61                                   // 00000000733C: D2850004 00007B04
	v_and_b32_e64 v5, v0, 1                                    // 000000007344: D1130005 00010300
	v_add_u32_e32 v4, v4, v5                                   // 00000000734C: 68080B04
	v_lshlrev_b32_e32 v4, 2, v4                                // 000000007350: 24080882
	v_add_u32_e32 v64, v64, v4                                 // 000000007354: 68800940
	v_add_u32_e32 v65, v65, v4                                 // 000000007358: 68820941
	v_add_u32_e32 v66, v66, v4                                 // 00000000735C: 68840942
	v_add_u32_e32 v67, v67, v4                                 // 000000007360: 68860943
	v_add_u32_e32 v68, v68, v4                                 // 000000007364: 68880944
	v_add_u32_e32 v69, v69, v4                                 // 000000007368: 688A0945
	v_add_u32_e32 v70, v70, v4                                 // 00000000736C: 688C0946
	v_add_u32_e32 v71, v71, v4                                 // 000000007370: 688E0947
	v_add_u32_e32 v72, v72, v4                                 // 000000007374: 68900948
	v_add_u32_e32 v73, v73, v4                                 // 000000007378: 68920949
	v_add_u32_e32 v74, v74, v4                                 // 00000000737C: 6894094A
	v_add_u32_e32 v75, v75, v4                                 // 000000007380: 6896094B
	v_add_u32_e32 v76, v76, v4                                 // 000000007384: 6898094C
	v_add_u32_e32 v77, v77, v4                                 // 000000007388: 689A094D
	v_add_u32_e32 v78, v78, v4                                 // 00000000738C: 689C094E
	v_add_u32_e32 v79, v79, v4                                 // 000000007390: 689E094F
	v_add_u32_e32 v80, v80, v4                                 // 000000007394: 68A00950
	v_add_u32_e32 v81, v81, v4                                 // 000000007398: 68A20951
	s_waitcnt lgkmcnt(0)                                       // 00000000739C: BF8CC07F
	s_barrier                                                  // 0000000073A0: BF8A0000
	ds_read_b32 v84, v21                                       // 0000000073A4: D86C0000 54000015
	ds_read_b32 v85, v21 offset:64                             // 0000000073AC: D86C0040 55000015
	ds_read_b32 v86, v21 offset:2176                           // 0000000073B4: D86C0880 56000015
	ds_read_b32 v87, v21 offset:2240                           // 0000000073BC: D86C08C0 57000015
	ds_read_b32 v88, v21 offset:4352                           // 0000000073C4: D86C1100 58000015
	ds_read_b32 v89, v21 offset:4416                           // 0000000073CC: D86C1140 59000015
	ds_read_b32 v90, v21 offset:6528                           // 0000000073D4: D86C1980 5A000015
	ds_read_b32 v91, v21 offset:6592                           // 0000000073DC: D86C19C0 5B000015
	ds_read_b32 v92, v21 offset:8704                           // 0000000073E4: D86C2200 5C000015
	ds_read_b32 v93, v21 offset:8768                           // 0000000073EC: D86C2240 5D000015
	ds_read_b32 v94, v21 offset:10880                          // 0000000073F4: D86C2A80 5E000015
	ds_read_b32 v95, v21 offset:10944                          // 0000000073FC: D86C2AC0 5F000015
	ds_read_b32 v96, v21 offset:13056                          // 000000007404: D86C3300 60000015
	ds_read_b32 v97, v21 offset:13120                          // 00000000740C: D86C3340 61000015
	ds_read_b32 v98, v21 offset:15232                          // 000000007414: D86C3B80 62000015
	ds_read_b32 v99, v21 offset:15296                          // 00000000741C: D86C3BC0 63000015
	ds_read_b32 v100, v21 offset:17408                         // 000000007424: D86C4400 64000015
	ds_read_b32 v101, v21 offset:17472                         // 00000000742C: D86C4440 65000015
	ds_read_b32 v102, v21 offset:19584                         // 000000007434: D86C4C80 66000015
	ds_read_b32 v103, v21 offset:19648                         // 00000000743C: D86C4CC0 67000015
	ds_read_b32 v104, v21 offset:21760                         // 000000007444: D86C5500 68000015
	ds_read_b32 v105, v21 offset:21824                         // 00000000744C: D86C5540 69000015
	ds_read_b32 v106, v21 offset:23936                         // 000000007454: D86C5D80 6A000015
	ds_read_b32 v107, v21 offset:24000                         // 00000000745C: D86C5DC0 6B000015
	ds_read_b32 v108, v21 offset:26112                         // 000000007464: D86C6600 6C000015
	ds_read_b32 v109, v21 offset:26176                         // 00000000746C: D86C6640 6D000015
	ds_read_b32 v110, v21 offset:28288                         // 000000007474: D86C6E80 6E000015
	ds_read_b32 v111, v21 offset:28352                         // 00000000747C: D86C6EC0 6F000015
	ds_read_b32 v112, v21 offset:30464                         // 000000007484: D86C7700 70000015
	ds_read_b32 v113, v21 offset:30528                         // 00000000748C: D86C7740 71000015
	ds_read_b32 v114, v21 offset:32640                         // 000000007494: D86C7F80 72000015
	ds_read_b32 v115, v21 offset:32704                         // 00000000749C: D86C7FC0 73000015
	ds_read_b32 v116, v21 offset:34816                         // 0000000074A4: D86C8800 74000015
	ds_read_b32 v117, v21 offset:34880                         // 0000000074AC: D86C8840 75000015
	ds_read_b32 v118, v21 offset:36992                         // 0000000074B4: D86C9080 76000015
	ds_read_b32 v119, v21 offset:37056                         // 0000000074BC: D86C90C0 77000015
	s_waitcnt lgkmcnt(0)                                       // 0000000074C4: BF8CC07F
	s_mov_b32 s36, -1                                          // 0000000074C8: BEA400C1
	s_mov_b32 s37, -1                                          // 0000000074CC: BEA500C1
	v_mov_b32_e32 v7, 0                                        // 0000000074D0: 7E0E0280
	s_or_b32 s9, s9, 0x40000                                   // 0000000074D4: 8709FF09 00040000
	s_mov_b64 exec, s[36:37]                                   // 0000000074DC: BEFE0124
	v_mov_b32_e32 v6, v64                                      // 0000000074E0: 7E0C0340
	s_mov_b64 s[60:61], 0                                      // 0000000074E4: BEBC0180
	v_readlane_b32 s82, v3, 0                                  // 0000000074E8: D2890052 00010103
	s_and_b32 s82, s82, 0xffffff                               // 0000000074F0: 8652FF52 00FFFFFF
	s_cmp_lt_u32 s82, s66                                      // 0000000074F8: BF0A4252
	s_cselect_b32 s20, s36, s60                                // 0000000074FC: 85143C24
	v_readlane_b32 s82, v3, 1                                  // 000000007500: D2890052 00010303
	s_and_b32 s82, s82, 0xffffff                               // 000000007508: 8652FF52 00FFFFFF
	s_cmp_lt_u32 s82, s66                                      // 000000007510: BF0A4252
	s_cselect_b32 s21, s36, s60                                // 000000007514: 85153C24
	s_mov_b64 exec, s[20:21]                                   // 000000007518: BEFE0114
	buffer_store_dword v84, v6, s[8:11], 0 offen               // 00000000751C: E0701000 80025406
	buffer_store_dword v86, v6, s[8:11], 0 offen offset:128    // 000000007524: E0701080 80025606
	s_mov_b64 exec, s[36:37]                                   // 00000000752C: BEFE0124
	v_mov_b32_e32 v6, v65                                      // 000000007530: 7E0C0341
	s_mov_b64 s[60:61], 0                                      // 000000007534: BEBC0180
	v_readlane_b32 s82, v3, 2                                  // 000000007538: D2890052 00010503
	s_and_b32 s82, s82, 0xffffff                               // 000000007540: 8652FF52 00FFFFFF
	s_cmp_lt_u32 s82, s66                                      // 000000007548: BF0A4252
	s_cselect_b32 s20, s36, s60                                // 00000000754C: 85143C24
	v_readlane_b32 s82, v3, 3                                  // 000000007550: D2890052 00010703
	s_and_b32 s82, s82, 0xffffff                               // 000000007558: 8652FF52 00FFFFFF
	s_cmp_lt_u32 s82, s66                                      // 000000007560: BF0A4252
	s_cselect_b32 s21, s36, s60                                // 000000007564: 85153C24
	s_mov_b64 exec, s[20:21]                                   // 000000007568: BEFE0114
	buffer_store_dword v85, v6, s[8:11], 0 offen               // 00000000756C: E0701000 80025506
	buffer_store_dword v87, v6, s[8:11], 0 offen offset:128    // 000000007574: E0701080 80025706
	s_mov_b64 exec, s[36:37]                                   // 00000000757C: BEFE0124
	v_mov_b32_e32 v6, v66                                      // 000000007580: 7E0C0342
	s_mov_b64 s[60:61], 0                                      // 000000007584: BEBC0180
	v_readlane_b32 s82, v3, 4                                  // 000000007588: D2890052 00010903
	s_and_b32 s82, s82, 0xffffff                               // 000000007590: 8652FF52 00FFFFFF
	s_cmp_lt_u32 s82, s66                                      // 000000007598: BF0A4252
	s_cselect_b32 s20, s36, s60                                // 00000000759C: 85143C24
	v_readlane_b32 s82, v3, 5                                  // 0000000075A0: D2890052 00010B03
	s_and_b32 s82, s82, 0xffffff                               // 0000000075A8: 8652FF52 00FFFFFF
	s_cmp_lt_u32 s82, s66                                      // 0000000075B0: BF0A4252
	s_cselect_b32 s21, s36, s60                                // 0000000075B4: 85153C24
	s_mov_b64 exec, s[20:21]                                   // 0000000075B8: BEFE0114
	buffer_store_dword v88, v6, s[8:11], 0 offen               // 0000000075BC: E0701000 80025806
	buffer_store_dword v90, v6, s[8:11], 0 offen offset:128    // 0000000075C4: E0701080 80025A06
	s_mov_b64 exec, s[36:37]                                   // 0000000075CC: BEFE0124
	v_mov_b32_e32 v6, v67                                      // 0000000075D0: 7E0C0343
	s_mov_b64 s[60:61], 0                                      // 0000000075D4: BEBC0180
	v_readlane_b32 s82, v3, 6                                  // 0000000075D8: D2890052 00010D03
	s_and_b32 s82, s82, 0xffffff                               // 0000000075E0: 8652FF52 00FFFFFF
	s_cmp_lt_u32 s82, s66                                      // 0000000075E8: BF0A4252
	s_cselect_b32 s20, s36, s60                                // 0000000075EC: 85143C24
	v_readlane_b32 s82, v3, 7                                  // 0000000075F0: D2890052 00010F03
	s_and_b32 s82, s82, 0xffffff                               // 0000000075F8: 8652FF52 00FFFFFF
	s_cmp_lt_u32 s82, s66                                      // 000000007600: BF0A4252
	s_cselect_b32 s21, s36, s60                                // 000000007604: 85153C24
	s_mov_b64 exec, s[20:21]                                   // 000000007608: BEFE0114
	buffer_store_dword v89, v6, s[8:11], 0 offen               // 00000000760C: E0701000 80025906
	buffer_store_dword v91, v6, s[8:11], 0 offen offset:128    // 000000007614: E0701080 80025B06
	s_mov_b64 exec, s[36:37]                                   // 00000000761C: BEFE0124
	v_mov_b32_e32 v6, v68                                      // 000000007620: 7E0C0344
	s_mov_b64 s[60:61], 0                                      // 000000007624: BEBC0180
	v_readlane_b32 s82, v3, 8                                  // 000000007628: D2890052 00011103
	s_and_b32 s82, s82, 0xffffff                               // 000000007630: 8652FF52 00FFFFFF
	s_cmp_lt_u32 s82, s66                                      // 000000007638: BF0A4252
	s_cselect_b32 s20, s36, s60                                // 00000000763C: 85143C24
	v_readlane_b32 s82, v3, 9                                  // 000000007640: D2890052 00011303
	s_and_b32 s82, s82, 0xffffff                               // 000000007648: 8652FF52 00FFFFFF
	s_cmp_lt_u32 s82, s66                                      // 000000007650: BF0A4252
	s_cselect_b32 s21, s36, s60                                // 000000007654: 85153C24
	s_mov_b64 exec, s[20:21]                                   // 000000007658: BEFE0114
	buffer_store_dword v92, v6, s[8:11], 0 offen               // 00000000765C: E0701000 80025C06
	buffer_store_dword v94, v6, s[8:11], 0 offen offset:128    // 000000007664: E0701080 80025E06
	s_mov_b64 exec, s[36:37]                                   // 00000000766C: BEFE0124
	v_mov_b32_e32 v6, v69                                      // 000000007670: 7E0C0345
	s_mov_b64 s[60:61], 0                                      // 000000007674: BEBC0180
	v_readlane_b32 s82, v3, 10                                 // 000000007678: D2890052 00011503
	s_and_b32 s82, s82, 0xffffff                               // 000000007680: 8652FF52 00FFFFFF
	s_cmp_lt_u32 s82, s66                                      // 000000007688: BF0A4252
	s_cselect_b32 s20, s36, s60                                // 00000000768C: 85143C24
	v_readlane_b32 s82, v3, 11                                 // 000000007690: D2890052 00011703
	s_and_b32 s82, s82, 0xffffff                               // 000000007698: 8652FF52 00FFFFFF
	s_cmp_lt_u32 s82, s66                                      // 0000000076A0: BF0A4252
	s_cselect_b32 s21, s36, s60                                // 0000000076A4: 85153C24
	s_mov_b64 exec, s[20:21]                                   // 0000000076A8: BEFE0114
	buffer_store_dword v93, v6, s[8:11], 0 offen               // 0000000076AC: E0701000 80025D06
	buffer_store_dword v95, v6, s[8:11], 0 offen offset:128    // 0000000076B4: E0701080 80025F06
	s_mov_b64 exec, s[36:37]                                   // 0000000076BC: BEFE0124
	v_mov_b32_e32 v6, v70                                      // 0000000076C0: 7E0C0346
	s_mov_b64 s[60:61], 0                                      // 0000000076C4: BEBC0180
	v_readlane_b32 s82, v3, 12                                 // 0000000076C8: D2890052 00011903
	s_and_b32 s82, s82, 0xffffff                               // 0000000076D0: 8652FF52 00FFFFFF
	s_cmp_lt_u32 s82, s66                                      // 0000000076D8: BF0A4252
	s_cselect_b32 s20, s36, s60                                // 0000000076DC: 85143C24
	v_readlane_b32 s82, v3, 13                                 // 0000000076E0: D2890052 00011B03
	s_and_b32 s82, s82, 0xffffff                               // 0000000076E8: 8652FF52 00FFFFFF
	s_cmp_lt_u32 s82, s66                                      // 0000000076F0: BF0A4252
	s_cselect_b32 s21, s36, s60                                // 0000000076F4: 85153C24
	s_mov_b64 exec, s[20:21]                                   // 0000000076F8: BEFE0114
	buffer_store_dword v96, v6, s[8:11], 0 offen               // 0000000076FC: E0701000 80026006
	buffer_store_dword v98, v6, s[8:11], 0 offen offset:128    // 000000007704: E0701080 80026206
	s_mov_b64 exec, s[36:37]                                   // 00000000770C: BEFE0124
	v_mov_b32_e32 v6, v71                                      // 000000007710: 7E0C0347
	s_mov_b64 s[60:61], 0                                      // 000000007714: BEBC0180
	v_readlane_b32 s82, v3, 14                                 // 000000007718: D2890052 00011D03
	s_and_b32 s82, s82, 0xffffff                               // 000000007720: 8652FF52 00FFFFFF
	s_cmp_lt_u32 s82, s66                                      // 000000007728: BF0A4252
	s_cselect_b32 s20, s36, s60                                // 00000000772C: 85143C24
	v_readlane_b32 s82, v3, 15                                 // 000000007730: D2890052 00011F03
	s_and_b32 s82, s82, 0xffffff                               // 000000007738: 8652FF52 00FFFFFF
	s_cmp_lt_u32 s82, s66                                      // 000000007740: BF0A4252
	s_cselect_b32 s21, s36, s60                                // 000000007744: 85153C24
	s_mov_b64 exec, s[20:21]                                   // 000000007748: BEFE0114
	buffer_store_dword v97, v6, s[8:11], 0 offen               // 00000000774C: E0701000 80026106
	buffer_store_dword v99, v6, s[8:11], 0 offen offset:128    // 000000007754: E0701080 80026306
	s_mov_b64 exec, s[36:37]                                   // 00000000775C: BEFE0124
	v_mov_b32_e32 v6, v72                                      // 000000007760: 7E0C0348
	s_mov_b64 s[60:61], 0                                      // 000000007764: BEBC0180
	v_readlane_b32 s82, v3, 16                                 // 000000007768: D2890052 00012103
	s_and_b32 s82, s82, 0xffffff                               // 000000007770: 8652FF52 00FFFFFF
	s_cmp_lt_u32 s82, s66                                      // 000000007778: BF0A4252
	s_cselect_b32 s20, s36, s60                                // 00000000777C: 85143C24
	v_readlane_b32 s82, v3, 17                                 // 000000007780: D2890052 00012303
	s_and_b32 s82, s82, 0xffffff                               // 000000007788: 8652FF52 00FFFFFF
	s_cmp_lt_u32 s82, s66                                      // 000000007790: BF0A4252
	s_cselect_b32 s21, s36, s60                                // 000000007794: 85153C24
	s_mov_b64 exec, s[20:21]                                   // 000000007798: BEFE0114
	buffer_store_dword v100, v6, s[8:11], 0 offen              // 00000000779C: E0701000 80026406
	buffer_store_dword v102, v6, s[8:11], 0 offen offset:128   // 0000000077A4: E0701080 80026606
	s_mov_b64 exec, s[36:37]                                   // 0000000077AC: BEFE0124
	v_mov_b32_e32 v6, v73                                      // 0000000077B0: 7E0C0349
	s_mov_b64 s[60:61], 0                                      // 0000000077B4: BEBC0180
	v_readlane_b32 s82, v3, 18                                 // 0000000077B8: D2890052 00012503
	s_and_b32 s82, s82, 0xffffff                               // 0000000077C0: 8652FF52 00FFFFFF
	s_cmp_lt_u32 s82, s66                                      // 0000000077C8: BF0A4252
	s_cselect_b32 s20, s36, s60                                // 0000000077CC: 85143C24
	v_readlane_b32 s82, v3, 19                                 // 0000000077D0: D2890052 00012703
	s_and_b32 s82, s82, 0xffffff                               // 0000000077D8: 8652FF52 00FFFFFF
	s_cmp_lt_u32 s82, s66                                      // 0000000077E0: BF0A4252
	s_cselect_b32 s21, s36, s60                                // 0000000077E4: 85153C24
	s_mov_b64 exec, s[20:21]                                   // 0000000077E8: BEFE0114
	buffer_store_dword v101, v6, s[8:11], 0 offen              // 0000000077EC: E0701000 80026506
	buffer_store_dword v103, v6, s[8:11], 0 offen offset:128   // 0000000077F4: E0701080 80026706
	s_mov_b64 exec, s[36:37]                                   // 0000000077FC: BEFE0124
	v_mov_b32_e32 v6, v74                                      // 000000007800: 7E0C034A
	s_mov_b64 s[60:61], 0                                      // 000000007804: BEBC0180
	v_readlane_b32 s82, v3, 20                                 // 000000007808: D2890052 00012903
	s_and_b32 s82, s82, 0xffffff                               // 000000007810: 8652FF52 00FFFFFF
	s_cmp_lt_u32 s82, s66                                      // 000000007818: BF0A4252
	s_cselect_b32 s20, s36, s60                                // 00000000781C: 85143C24
	v_readlane_b32 s82, v3, 21                                 // 000000007820: D2890052 00012B03
	s_and_b32 s82, s82, 0xffffff                               // 000000007828: 8652FF52 00FFFFFF
	s_cmp_lt_u32 s82, s66                                      // 000000007830: BF0A4252
	s_cselect_b32 s21, s36, s60                                // 000000007834: 85153C24
	s_mov_b64 exec, s[20:21]                                   // 000000007838: BEFE0114
	buffer_store_dword v104, v6, s[8:11], 0 offen              // 00000000783C: E0701000 80026806
	buffer_store_dword v106, v6, s[8:11], 0 offen offset:128   // 000000007844: E0701080 80026A06
	s_mov_b64 exec, s[36:37]                                   // 00000000784C: BEFE0124
	v_mov_b32_e32 v6, v75                                      // 000000007850: 7E0C034B
	s_mov_b64 s[60:61], 0                                      // 000000007854: BEBC0180
	v_readlane_b32 s82, v3, 22                                 // 000000007858: D2890052 00012D03
	s_and_b32 s82, s82, 0xffffff                               // 000000007860: 8652FF52 00FFFFFF
	s_cmp_lt_u32 s82, s66                                      // 000000007868: BF0A4252
	s_cselect_b32 s20, s36, s60                                // 00000000786C: 85143C24
	v_readlane_b32 s82, v3, 23                                 // 000000007870: D2890052 00012F03
	s_and_b32 s82, s82, 0xffffff                               // 000000007878: 8652FF52 00FFFFFF
	s_cmp_lt_u32 s82, s66                                      // 000000007880: BF0A4252
	s_cselect_b32 s21, s36, s60                                // 000000007884: 85153C24
	s_mov_b64 exec, s[20:21]                                   // 000000007888: BEFE0114
	buffer_store_dword v105, v6, s[8:11], 0 offen              // 00000000788C: E0701000 80026906
	buffer_store_dword v107, v6, s[8:11], 0 offen offset:128   // 000000007894: E0701080 80026B06
	s_mov_b64 exec, s[36:37]                                   // 00000000789C: BEFE0124
	v_mov_b32_e32 v6, v76                                      // 0000000078A0: 7E0C034C
	s_mov_b64 s[60:61], 0                                      // 0000000078A4: BEBC0180
	v_readlane_b32 s82, v3, 24                                 // 0000000078A8: D2890052 00013103
	s_and_b32 s82, s82, 0xffffff                               // 0000000078B0: 8652FF52 00FFFFFF
	s_cmp_lt_u32 s82, s66                                      // 0000000078B8: BF0A4252
	s_cselect_b32 s20, s36, s60                                // 0000000078BC: 85143C24
	v_readlane_b32 s82, v3, 25                                 // 0000000078C0: D2890052 00013303
	s_and_b32 s82, s82, 0xffffff                               // 0000000078C8: 8652FF52 00FFFFFF
	s_cmp_lt_u32 s82, s66                                      // 0000000078D0: BF0A4252
	s_cselect_b32 s21, s36, s60                                // 0000000078D4: 85153C24
	s_mov_b64 exec, s[20:21]                                   // 0000000078D8: BEFE0114
	buffer_store_dword v108, v6, s[8:11], 0 offen              // 0000000078DC: E0701000 80026C06
	buffer_store_dword v110, v6, s[8:11], 0 offen offset:128   // 0000000078E4: E0701080 80026E06
	s_mov_b64 exec, s[36:37]                                   // 0000000078EC: BEFE0124
	v_mov_b32_e32 v6, v77                                      // 0000000078F0: 7E0C034D
	s_mov_b64 s[60:61], 0                                      // 0000000078F4: BEBC0180
	v_readlane_b32 s82, v3, 26                                 // 0000000078F8: D2890052 00013503
	s_and_b32 s82, s82, 0xffffff                               // 000000007900: 8652FF52 00FFFFFF
	s_cmp_lt_u32 s82, s66                                      // 000000007908: BF0A4252
	s_cselect_b32 s20, s36, s60                                // 00000000790C: 85143C24
	v_readlane_b32 s82, v3, 27                                 // 000000007910: D2890052 00013703
	s_and_b32 s82, s82, 0xffffff                               // 000000007918: 8652FF52 00FFFFFF
	s_cmp_lt_u32 s82, s66                                      // 000000007920: BF0A4252
	s_cselect_b32 s21, s36, s60                                // 000000007924: 85153C24
	s_mov_b64 exec, s[20:21]                                   // 000000007928: BEFE0114
	buffer_store_dword v109, v6, s[8:11], 0 offen              // 00000000792C: E0701000 80026D06
	buffer_store_dword v111, v6, s[8:11], 0 offen offset:128   // 000000007934: E0701080 80026F06
	s_mov_b64 exec, s[36:37]                                   // 00000000793C: BEFE0124
	v_mov_b32_e32 v6, v78                                      // 000000007940: 7E0C034E
	s_mov_b64 s[60:61], 0                                      // 000000007944: BEBC0180
	v_readlane_b32 s82, v3, 28                                 // 000000007948: D2890052 00013903
	s_and_b32 s82, s82, 0xffffff                               // 000000007950: 8652FF52 00FFFFFF
	s_cmp_lt_u32 s82, s66                                      // 000000007958: BF0A4252
	s_cselect_b32 s20, s36, s60                                // 00000000795C: 85143C24
	v_readlane_b32 s82, v3, 29                                 // 000000007960: D2890052 00013B03
	s_and_b32 s82, s82, 0xffffff                               // 000000007968: 8652FF52 00FFFFFF
	s_cmp_lt_u32 s82, s66                                      // 000000007970: BF0A4252
	s_cselect_b32 s21, s36, s60                                // 000000007974: 85153C24
	s_mov_b64 exec, s[20:21]                                   // 000000007978: BEFE0114
	buffer_store_dword v112, v6, s[8:11], 0 offen              // 00000000797C: E0701000 80027006
	buffer_store_dword v114, v6, s[8:11], 0 offen offset:128   // 000000007984: E0701080 80027206
	s_mov_b64 exec, s[36:37]                                   // 00000000798C: BEFE0124
	v_mov_b32_e32 v6, v79                                      // 000000007990: 7E0C034F
	s_mov_b64 s[60:61], 0                                      // 000000007994: BEBC0180
	v_readlane_b32 s82, v3, 30                                 // 000000007998: D2890052 00013D03
	s_and_b32 s82, s82, 0xffffff                               // 0000000079A0: 8652FF52 00FFFFFF
	s_cmp_lt_u32 s82, s66                                      // 0000000079A8: BF0A4252
	s_cselect_b32 s20, s36, s60                                // 0000000079AC: 85143C24
	v_readlane_b32 s82, v3, 31                                 // 0000000079B0: D2890052 00013F03
	s_and_b32 s82, s82, 0xffffff                               // 0000000079B8: 8652FF52 00FFFFFF
	s_cmp_lt_u32 s82, s66                                      // 0000000079C0: BF0A4252
	s_cselect_b32 s21, s36, s60                                // 0000000079C4: 85153C24
	s_mov_b64 exec, s[20:21]                                   // 0000000079C8: BEFE0114
	buffer_store_dword v113, v6, s[8:11], 0 offen              // 0000000079CC: E0701000 80027106
	buffer_store_dword v115, v6, s[8:11], 0 offen offset:128   // 0000000079D4: E0701080 80027306
	s_mov_b64 exec, s[36:37]                                   // 0000000079DC: BEFE0124
	v_mov_b32_e32 v6, v80                                      // 0000000079E0: 7E0C0350
	s_mov_b64 s[60:61], 0                                      // 0000000079E4: BEBC0180
	v_readlane_b32 s82, v3, 32                                 // 0000000079E8: D2890052 00014103
	s_and_b32 s82, s82, 0xffffff                               // 0000000079F0: 8652FF52 00FFFFFF
	s_cmp_lt_u32 s82, s66                                      // 0000000079F8: BF0A4252
	s_cselect_b32 s20, s36, s60                                // 0000000079FC: 85143C24
	v_readlane_b32 s82, v3, 33                                 // 000000007A00: D2890052 00014303
	s_and_b32 s82, s82, 0xffffff                               // 000000007A08: 8652FF52 00FFFFFF
	s_cmp_lt_u32 s82, s66                                      // 000000007A10: BF0A4252
	s_cselect_b32 s21, s36, s60                                // 000000007A14: 85153C24
	s_mov_b64 exec, s[20:21]                                   // 000000007A18: BEFE0114
	buffer_store_dword v116, v6, s[8:11], 0 offen              // 000000007A1C: E0701000 80027406
	buffer_store_dword v118, v6, s[8:11], 0 offen offset:128   // 000000007A24: E0701080 80027606
	s_mov_b64 exec, s[36:37]                                   // 000000007A2C: BEFE0124
	v_mov_b32_e32 v6, v81                                      // 000000007A30: 7E0C0351
	s_mov_b64 s[60:61], 0                                      // 000000007A34: BEBC0180
	v_readlane_b32 s82, v3, 34                                 // 000000007A38: D2890052 00014503
	s_and_b32 s82, s82, 0xffffff                               // 000000007A40: 8652FF52 00FFFFFF
	s_cmp_lt_u32 s82, s66                                      // 000000007A48: BF0A4252
	s_cselect_b32 s20, s36, s60                                // 000000007A4C: 85143C24
	v_readlane_b32 s82, v3, 35                                 // 000000007A50: D2890052 00014703
	s_and_b32 s82, s82, 0xffffff                               // 000000007A58: 8652FF52 00FFFFFF
	s_cmp_lt_u32 s82, s66                                      // 000000007A60: BF0A4252
	s_cselect_b32 s21, s36, s60                                // 000000007A64: 85153C24
	s_mov_b64 exec, s[20:21]                                   // 000000007A68: BEFE0114
	buffer_store_dword v117, v6, s[8:11], 0 offen              // 000000007A6C: E0701000 80027506
	buffer_store_dword v119, v6, s[8:11], 0 offen offset:128   // 000000007A74: E0701080 80027706
	s_mov_b64 exec, s[36:37]                                   // 000000007A7C: BEFE0124
	s_branch label_3676                                        // 000000007A80: BF822252

0000000000007a84 <label_1421>:
	ds_write_b64 v20, v[84:85]                                 // 000000007A84: D89A0000 00005414
	ds_write_b64 v20, v[88:89] offset:4352                     // 000000007A8C: D89A1100 00005814
	ds_write_b64 v20, v[92:93] offset:8704                     // 000000007A94: D89A2200 00005C14
	ds_write_b64 v20, v[96:97] offset:13056                    // 000000007A9C: D89A3300 00006014
	ds_write_b64 v20, v[100:101] offset:17408                  // 000000007AA4: D89A4400 00006414
	ds_write_b64 v20, v[104:105] offset:21760                  // 000000007AAC: D89A5500 00006814
	ds_write_b64 v20, v[108:109] offset:26112                  // 000000007AB4: D89A6600 00006C14
	ds_write_b64 v20, v[112:113] offset:30464                  // 000000007ABC: D89A7700 00007014
	ds_write_b64 v20, v[116:117] offset:34816                  // 000000007AC4: D89A8800 00007414
	ds_write_b64 v20, v[120:121] offset:2176                   // 000000007ACC: D89A0880 00007814
	ds_write_b64 v20, v[124:125] offset:6528                   // 000000007AD4: D89A1980 00007C14
	ds_write_b64 v20, v[128:129] offset:10880                  // 000000007ADC: D89A2A80 00008014
	ds_write_b64 v20, v[132:133] offset:15232                  // 000000007AE4: D89A3B80 00008414
	ds_write_b64 v20, v[136:137] offset:19584                  // 000000007AEC: D89A4C80 00008814
	ds_write_b64 v20, v[140:141] offset:23936                  // 000000007AF4: D89A5D80 00008C14
	ds_write_b64 v20, v[144:145] offset:28288                  // 000000007AFC: D89A6E80 00009014
	ds_write_b64 v20, v[148:149] offset:32640                  // 000000007B04: D89A7F80 00009414
	ds_write_b64 v20, v[152:153] offset:36992                  // 000000007B0C: D89A9080 00009814
	v_lshrrev_b32_e32 v4, 5, v0                                // 000000007B14: 20080085
	v_xor_b32_e32 v5, 1, v4                                    // 000000007B18: 2A0A0881
	s_mul_i32 s60, s65, 2                                      // 000000007B1C: 923C8241
	s_cmp_eq_u32 s88, 0                                        // 000000007B20: BF068058
	s_cselect_b32 s61, 1, 4                                    // 000000007B24: 853D8481
	s_mul_i32 s60, s61, s60                                    // 000000007B28: 923C3C3D
	v_readlane_b32 s82, v3, 0                                  // 000000007B2C: D2890052 00010103
	s_lshr_b32 s61, s82, 24                                    // 000000007B34: 8F3D9852
	s_and_b32 s82, s82, 0xffffff                               // 000000007B38: 8652FF52 00FFFFFF
	s_mul_i32 s82, s82, s71                                    // 000000007B40: 92524752
	s_mul_i32 s61, s60, s61                                    // 000000007B44: 923D3D3C
	s_add_u32 s82, s82, s61                                    // 000000007B48: 80523D52
	v_mul_lo_u32 v6, v5, s82                                   // 000000007B4C: D2850006 0000A505
	v_readlane_b32 s82, v3, 1                                  // 000000007B54: D2890052 00010303
	s_lshr_b32 s61, s82, 24                                    // 000000007B5C: 8F3D9852
	s_and_b32 s82, s82, 0xffffff                               // 000000007B60: 8652FF52 00FFFFFF
	s_mul_i32 s82, s82, s71                                    // 000000007B68: 92524752
	s_mul_i32 s61, s60, s61                                    // 000000007B6C: 923D3D3C
	s_add_u32 s82, s82, s61                                    // 000000007B70: 80523D52
	v_mul_lo_u32 v7, v4, s82                                   // 000000007B74: D2850007 0000A504
	v_add_u32_e32 v64, v6, v7                                  // 000000007B7C: 68800F06
	v_readlane_b32 s82, v3, 2                                  // 000000007B80: D2890052 00010503
	s_lshr_b32 s61, s82, 24                                    // 000000007B88: 8F3D9852
	s_and_b32 s82, s82, 0xffffff                               // 000000007B8C: 8652FF52 00FFFFFF
	s_mul_i32 s82, s82, s71                                    // 000000007B94: 92524752
	s_mul_i32 s61, s60, s61                                    // 000000007B98: 923D3D3C
	s_add_u32 s82, s82, s61                                    // 000000007B9C: 80523D52
	v_mul_lo_u32 v6, v5, s82                                   // 000000007BA0: D2850006 0000A505
	v_readlane_b32 s82, v3, 3                                  // 000000007BA8: D2890052 00010703
	s_lshr_b32 s61, s82, 24                                    // 000000007BB0: 8F3D9852
	s_and_b32 s82, s82, 0xffffff                               // 000000007BB4: 8652FF52 00FFFFFF
	s_mul_i32 s82, s82, s71                                    // 000000007BBC: 92524752
	s_mul_i32 s61, s60, s61                                    // 000000007BC0: 923D3D3C
	s_add_u32 s82, s82, s61                                    // 000000007BC4: 80523D52
	v_mul_lo_u32 v7, v4, s82                                   // 000000007BC8: D2850007 0000A504
	v_add_u32_e32 v65, v6, v7                                  // 000000007BD0: 68820F06
	v_readlane_b32 s82, v3, 4                                  // 000000007BD4: D2890052 00010903
	s_lshr_b32 s61, s82, 24                                    // 000000007BDC: 8F3D9852
	s_and_b32 s82, s82, 0xffffff                               // 000000007BE0: 8652FF52 00FFFFFF
	s_mul_i32 s82, s82, s71                                    // 000000007BE8: 92524752
	s_mul_i32 s61, s60, s61                                    // 000000007BEC: 923D3D3C
	s_add_u32 s82, s82, s61                                    // 000000007BF0: 80523D52
	v_mul_lo_u32 v6, v5, s82                                   // 000000007BF4: D2850006 0000A505
	v_readlane_b32 s82, v3, 5                                  // 000000007BFC: D2890052 00010B03
	s_lshr_b32 s61, s82, 24                                    // 000000007C04: 8F3D9852
	s_and_b32 s82, s82, 0xffffff                               // 000000007C08: 8652FF52 00FFFFFF
	s_mul_i32 s82, s82, s71                                    // 000000007C10: 92524752
	s_mul_i32 s61, s60, s61                                    // 000000007C14: 923D3D3C
	s_add_u32 s82, s82, s61                                    // 000000007C18: 80523D52
	v_mul_lo_u32 v7, v4, s82                                   // 000000007C1C: D2850007 0000A504
	v_add_u32_e32 v66, v6, v7                                  // 000000007C24: 68840F06
	v_readlane_b32 s82, v3, 6                                  // 000000007C28: D2890052 00010D03
	s_lshr_b32 s61, s82, 24                                    // 000000007C30: 8F3D9852
	s_and_b32 s82, s82, 0xffffff                               // 000000007C34: 8652FF52 00FFFFFF
	s_mul_i32 s82, s82, s71                                    // 000000007C3C: 92524752
	s_mul_i32 s61, s60, s61                                    // 000000007C40: 923D3D3C
	s_add_u32 s82, s82, s61                                    // 000000007C44: 80523D52
	v_mul_lo_u32 v6, v5, s82                                   // 000000007C48: D2850006 0000A505
	v_readlane_b32 s82, v3, 7                                  // 000000007C50: D2890052 00010F03
	s_lshr_b32 s61, s82, 24                                    // 000000007C58: 8F3D9852
	s_and_b32 s82, s82, 0xffffff                               // 000000007C5C: 8652FF52 00FFFFFF
	s_mul_i32 s82, s82, s71                                    // 000000007C64: 92524752
	s_mul_i32 s61, s60, s61                                    // 000000007C68: 923D3D3C
	s_add_u32 s82, s82, s61                                    // 000000007C6C: 80523D52
	v_mul_lo_u32 v7, v4, s82                                   // 000000007C70: D2850007 0000A504
	v_add_u32_e32 v67, v6, v7                                  // 000000007C78: 68860F06
	v_readlane_b32 s82, v3, 8                                  // 000000007C7C: D2890052 00011103
	s_lshr_b32 s61, s82, 24                                    // 000000007C84: 8F3D9852
	s_and_b32 s82, s82, 0xffffff                               // 000000007C88: 8652FF52 00FFFFFF
	s_mul_i32 s82, s82, s71                                    // 000000007C90: 92524752
	s_mul_i32 s61, s60, s61                                    // 000000007C94: 923D3D3C
	s_add_u32 s82, s82, s61                                    // 000000007C98: 80523D52
	v_mul_lo_u32 v6, v5, s82                                   // 000000007C9C: D2850006 0000A505
	v_readlane_b32 s82, v3, 9                                  // 000000007CA4: D2890052 00011303
	s_lshr_b32 s61, s82, 24                                    // 000000007CAC: 8F3D9852
	s_and_b32 s82, s82, 0xffffff                               // 000000007CB0: 8652FF52 00FFFFFF
	s_mul_i32 s82, s82, s71                                    // 000000007CB8: 92524752
	s_mul_i32 s61, s60, s61                                    // 000000007CBC: 923D3D3C
	s_add_u32 s82, s82, s61                                    // 000000007CC0: 80523D52
	v_mul_lo_u32 v7, v4, s82                                   // 000000007CC4: D2850007 0000A504
	v_add_u32_e32 v68, v6, v7                                  // 000000007CCC: 68880F06
	v_readlane_b32 s82, v3, 10                                 // 000000007CD0: D2890052 00011503
	s_lshr_b32 s61, s82, 24                                    // 000000007CD8: 8F3D9852
	s_and_b32 s82, s82, 0xffffff                               // 000000007CDC: 8652FF52 00FFFFFF
	s_mul_i32 s82, s82, s71                                    // 000000007CE4: 92524752
	s_mul_i32 s61, s60, s61                                    // 000000007CE8: 923D3D3C
	s_add_u32 s82, s82, s61                                    // 000000007CEC: 80523D52
	v_mul_lo_u32 v6, v5, s82                                   // 000000007CF0: D2850006 0000A505
	v_readlane_b32 s82, v3, 11                                 // 000000007CF8: D2890052 00011703
	s_lshr_b32 s61, s82, 24                                    // 000000007D00: 8F3D9852
	s_and_b32 s82, s82, 0xffffff                               // 000000007D04: 8652FF52 00FFFFFF
	s_mul_i32 s82, s82, s71                                    // 000000007D0C: 92524752
	s_mul_i32 s61, s60, s61                                    // 000000007D10: 923D3D3C
	s_add_u32 s82, s82, s61                                    // 000000007D14: 80523D52
	v_mul_lo_u32 v7, v4, s82                                   // 000000007D18: D2850007 0000A504
	v_add_u32_e32 v69, v6, v7                                  // 000000007D20: 688A0F06
	v_readlane_b32 s82, v3, 12                                 // 000000007D24: D2890052 00011903
	s_lshr_b32 s61, s82, 24                                    // 000000007D2C: 8F3D9852
	s_and_b32 s82, s82, 0xffffff                               // 000000007D30: 8652FF52 00FFFFFF
	s_mul_i32 s82, s82, s71                                    // 000000007D38: 92524752
	s_mul_i32 s61, s60, s61                                    // 000000007D3C: 923D3D3C
	s_add_u32 s82, s82, s61                                    // 000000007D40: 80523D52
	v_mul_lo_u32 v6, v5, s82                                   // 000000007D44: D2850006 0000A505
	v_readlane_b32 s82, v3, 13                                 // 000000007D4C: D2890052 00011B03
	s_lshr_b32 s61, s82, 24                                    // 000000007D54: 8F3D9852
	s_and_b32 s82, s82, 0xffffff                               // 000000007D58: 8652FF52 00FFFFFF
	s_mul_i32 s82, s82, s71                                    // 000000007D60: 92524752
	s_mul_i32 s61, s60, s61                                    // 000000007D64: 923D3D3C
	s_add_u32 s82, s82, s61                                    // 000000007D68: 80523D52
	v_mul_lo_u32 v7, v4, s82                                   // 000000007D6C: D2850007 0000A504
	v_add_u32_e32 v70, v6, v7                                  // 000000007D74: 688C0F06
	v_readlane_b32 s82, v3, 14                                 // 000000007D78: D2890052 00011D03
	s_lshr_b32 s61, s82, 24                                    // 000000007D80: 8F3D9852
	s_and_b32 s82, s82, 0xffffff                               // 000000007D84: 8652FF52 00FFFFFF
	s_mul_i32 s82, s82, s71                                    // 000000007D8C: 92524752
	s_mul_i32 s61, s60, s61                                    // 000000007D90: 923D3D3C
	s_add_u32 s82, s82, s61                                    // 000000007D94: 80523D52
	v_mul_lo_u32 v6, v5, s82                                   // 000000007D98: D2850006 0000A505
	v_readlane_b32 s82, v3, 15                                 // 000000007DA0: D2890052 00011F03
	s_lshr_b32 s61, s82, 24                                    // 000000007DA8: 8F3D9852
	s_and_b32 s82, s82, 0xffffff                               // 000000007DAC: 8652FF52 00FFFFFF
	s_mul_i32 s82, s82, s71                                    // 000000007DB4: 92524752
	s_mul_i32 s61, s60, s61                                    // 000000007DB8: 923D3D3C
	s_add_u32 s82, s82, s61                                    // 000000007DBC: 80523D52
	v_mul_lo_u32 v7, v4, s82                                   // 000000007DC0: D2850007 0000A504
	v_add_u32_e32 v71, v6, v7                                  // 000000007DC8: 688E0F06
	v_readlane_b32 s82, v3, 16                                 // 000000007DCC: D2890052 00012103
	s_lshr_b32 s61, s82, 24                                    // 000000007DD4: 8F3D9852
	s_and_b32 s82, s82, 0xffffff                               // 000000007DD8: 8652FF52 00FFFFFF
	s_mul_i32 s82, s82, s71                                    // 000000007DE0: 92524752
	s_mul_i32 s61, s60, s61                                    // 000000007DE4: 923D3D3C
	s_add_u32 s82, s82, s61                                    // 000000007DE8: 80523D52
	v_mul_lo_u32 v6, v5, s82                                   // 000000007DEC: D2850006 0000A505
	v_readlane_b32 s82, v3, 17                                 // 000000007DF4: D2890052 00012303
	s_lshr_b32 s61, s82, 24                                    // 000000007DFC: 8F3D9852
	s_and_b32 s82, s82, 0xffffff                               // 000000007E00: 8652FF52 00FFFFFF
	s_mul_i32 s82, s82, s71                                    // 000000007E08: 92524752
	s_mul_i32 s61, s60, s61                                    // 000000007E0C: 923D3D3C
	s_add_u32 s82, s82, s61                                    // 000000007E10: 80523D52
	v_mul_lo_u32 v7, v4, s82                                   // 000000007E14: D2850007 0000A504
	v_add_u32_e32 v72, v6, v7                                  // 000000007E1C: 68900F06
	v_readlane_b32 s82, v3, 18                                 // 000000007E20: D2890052 00012503
	s_lshr_b32 s61, s82, 24                                    // 000000007E28: 8F3D9852
	s_and_b32 s82, s82, 0xffffff                               // 000000007E2C: 8652FF52 00FFFFFF
	s_mul_i32 s82, s82, s71                                    // 000000007E34: 92524752
	s_mul_i32 s61, s60, s61                                    // 000000007E38: 923D3D3C
	s_add_u32 s82, s82, s61                                    // 000000007E3C: 80523D52
	v_mul_lo_u32 v6, v5, s82                                   // 000000007E40: D2850006 0000A505
	v_readlane_b32 s82, v3, 19                                 // 000000007E48: D2890052 00012703
	s_lshr_b32 s61, s82, 24                                    // 000000007E50: 8F3D9852
	s_and_b32 s82, s82, 0xffffff                               // 000000007E54: 8652FF52 00FFFFFF
	s_mul_i32 s82, s82, s71                                    // 000000007E5C: 92524752
	s_mul_i32 s61, s60, s61                                    // 000000007E60: 923D3D3C
	s_add_u32 s82, s82, s61                                    // 000000007E64: 80523D52
	v_mul_lo_u32 v7, v4, s82                                   // 000000007E68: D2850007 0000A504
	v_add_u32_e32 v73, v6, v7                                  // 000000007E70: 68920F06
	v_readlane_b32 s82, v3, 20                                 // 000000007E74: D2890052 00012903
	s_lshr_b32 s61, s82, 24                                    // 000000007E7C: 8F3D9852
	s_and_b32 s82, s82, 0xffffff                               // 000000007E80: 8652FF52 00FFFFFF
	s_mul_i32 s82, s82, s71                                    // 000000007E88: 92524752
	s_mul_i32 s61, s60, s61                                    // 000000007E8C: 923D3D3C
	s_add_u32 s82, s82, s61                                    // 000000007E90: 80523D52
	v_mul_lo_u32 v6, v5, s82                                   // 000000007E94: D2850006 0000A505
	v_readlane_b32 s82, v3, 21                                 // 000000007E9C: D2890052 00012B03
	s_lshr_b32 s61, s82, 24                                    // 000000007EA4: 8F3D9852
	s_and_b32 s82, s82, 0xffffff                               // 000000007EA8: 8652FF52 00FFFFFF
	s_mul_i32 s82, s82, s71                                    // 000000007EB0: 92524752
	s_mul_i32 s61, s60, s61                                    // 000000007EB4: 923D3D3C
	s_add_u32 s82, s82, s61                                    // 000000007EB8: 80523D52
	v_mul_lo_u32 v7, v4, s82                                   // 000000007EBC: D2850007 0000A504
	v_add_u32_e32 v74, v6, v7                                  // 000000007EC4: 68940F06
	v_readlane_b32 s82, v3, 22                                 // 000000007EC8: D2890052 00012D03
	s_lshr_b32 s61, s82, 24                                    // 000000007ED0: 8F3D9852
	s_and_b32 s82, s82, 0xffffff                               // 000000007ED4: 8652FF52 00FFFFFF
	s_mul_i32 s82, s82, s71                                    // 000000007EDC: 92524752
	s_mul_i32 s61, s60, s61                                    // 000000007EE0: 923D3D3C
	s_add_u32 s82, s82, s61                                    // 000000007EE4: 80523D52
	v_mul_lo_u32 v6, v5, s82                                   // 000000007EE8: D2850006 0000A505
	v_readlane_b32 s82, v3, 23                                 // 000000007EF0: D2890052 00012F03
	s_lshr_b32 s61, s82, 24                                    // 000000007EF8: 8F3D9852
	s_and_b32 s82, s82, 0xffffff                               // 000000007EFC: 8652FF52 00FFFFFF
	s_mul_i32 s82, s82, s71                                    // 000000007F04: 92524752
	s_mul_i32 s61, s60, s61                                    // 000000007F08: 923D3D3C
	s_add_u32 s82, s82, s61                                    // 000000007F0C: 80523D52
	v_mul_lo_u32 v7, v4, s82                                   // 000000007F10: D2850007 0000A504
	v_add_u32_e32 v75, v6, v7                                  // 000000007F18: 68960F06
	v_readlane_b32 s82, v3, 24                                 // 000000007F1C: D2890052 00013103
	s_lshr_b32 s61, s82, 24                                    // 000000007F24: 8F3D9852
	s_and_b32 s82, s82, 0xffffff                               // 000000007F28: 8652FF52 00FFFFFF
	s_mul_i32 s82, s82, s71                                    // 000000007F30: 92524752
	s_mul_i32 s61, s60, s61                                    // 000000007F34: 923D3D3C
	s_add_u32 s82, s82, s61                                    // 000000007F38: 80523D52
	v_mul_lo_u32 v6, v5, s82                                   // 000000007F3C: D2850006 0000A505
	v_readlane_b32 s82, v3, 25                                 // 000000007F44: D2890052 00013303
	s_lshr_b32 s61, s82, 24                                    // 000000007F4C: 8F3D9852
	s_and_b32 s82, s82, 0xffffff                               // 000000007F50: 8652FF52 00FFFFFF
	s_mul_i32 s82, s82, s71                                    // 000000007F58: 92524752
	s_mul_i32 s61, s60, s61                                    // 000000007F5C: 923D3D3C
	s_add_u32 s82, s82, s61                                    // 000000007F60: 80523D52
	v_mul_lo_u32 v7, v4, s82                                   // 000000007F64: D2850007 0000A504
	v_add_u32_e32 v76, v6, v7                                  // 000000007F6C: 68980F06
	v_readlane_b32 s82, v3, 26                                 // 000000007F70: D2890052 00013503
	s_lshr_b32 s61, s82, 24                                    // 000000007F78: 8F3D9852
	s_and_b32 s82, s82, 0xffffff                               // 000000007F7C: 8652FF52 00FFFFFF
	s_mul_i32 s82, s82, s71                                    // 000000007F84: 92524752
	s_mul_i32 s61, s60, s61                                    // 000000007F88: 923D3D3C
	s_add_u32 s82, s82, s61                                    // 000000007F8C: 80523D52
	v_mul_lo_u32 v6, v5, s82                                   // 000000007F90: D2850006 0000A505
	v_readlane_b32 s82, v3, 27                                 // 000000007F98: D2890052 00013703
	s_lshr_b32 s61, s82, 24                                    // 000000007FA0: 8F3D9852
	s_and_b32 s82, s82, 0xffffff                               // 000000007FA4: 8652FF52 00FFFFFF
	s_mul_i32 s82, s82, s71                                    // 000000007FAC: 92524752
	s_mul_i32 s61, s60, s61                                    // 000000007FB0: 923D3D3C
	s_add_u32 s82, s82, s61                                    // 000000007FB4: 80523D52
	v_mul_lo_u32 v7, v4, s82                                   // 000000007FB8: D2850007 0000A504
	v_add_u32_e32 v77, v6, v7                                  // 000000007FC0: 689A0F06
	v_readlane_b32 s82, v3, 28                                 // 000000007FC4: D2890052 00013903
	s_lshr_b32 s61, s82, 24                                    // 000000007FCC: 8F3D9852
	s_and_b32 s82, s82, 0xffffff                               // 000000007FD0: 8652FF52 00FFFFFF
	s_mul_i32 s82, s82, s71                                    // 000000007FD8: 92524752
	s_mul_i32 s61, s60, s61                                    // 000000007FDC: 923D3D3C
	s_add_u32 s82, s82, s61                                    // 000000007FE0: 80523D52
	v_mul_lo_u32 v6, v5, s82                                   // 000000007FE4: D2850006 0000A505
	v_readlane_b32 s82, v3, 29                                 // 000000007FEC: D2890052 00013B03
	s_lshr_b32 s61, s82, 24                                    // 000000007FF4: 8F3D9852
	s_and_b32 s82, s82, 0xffffff                               // 000000007FF8: 8652FF52 00FFFFFF
	s_mul_i32 s82, s82, s71                                    // 000000008000: 92524752
	s_mul_i32 s61, s60, s61                                    // 000000008004: 923D3D3C
	s_add_u32 s82, s82, s61                                    // 000000008008: 80523D52
	v_mul_lo_u32 v7, v4, s82                                   // 00000000800C: D2850007 0000A504
	v_add_u32_e32 v78, v6, v7                                  // 000000008014: 689C0F06
	v_readlane_b32 s82, v3, 30                                 // 000000008018: D2890052 00013D03
	s_lshr_b32 s61, s82, 24                                    // 000000008020: 8F3D9852
	s_and_b32 s82, s82, 0xffffff                               // 000000008024: 8652FF52 00FFFFFF
	s_mul_i32 s82, s82, s71                                    // 00000000802C: 92524752
	s_mul_i32 s61, s60, s61                                    // 000000008030: 923D3D3C
	s_add_u32 s82, s82, s61                                    // 000000008034: 80523D52
	v_mul_lo_u32 v6, v5, s82                                   // 000000008038: D2850006 0000A505
	v_readlane_b32 s82, v3, 31                                 // 000000008040: D2890052 00013F03
	s_lshr_b32 s61, s82, 24                                    // 000000008048: 8F3D9852
	s_and_b32 s82, s82, 0xffffff                               // 00000000804C: 8652FF52 00FFFFFF
	s_mul_i32 s82, s82, s71                                    // 000000008054: 92524752
	s_mul_i32 s61, s60, s61                                    // 000000008058: 923D3D3C
	s_add_u32 s82, s82, s61                                    // 00000000805C: 80523D52
	v_mul_lo_u32 v7, v4, s82                                   // 000000008060: D2850007 0000A504
	v_add_u32_e32 v79, v6, v7                                  // 000000008068: 689E0F06
	v_readlane_b32 s82, v3, 32                                 // 00000000806C: D2890052 00014103
	s_lshr_b32 s61, s82, 24                                    // 000000008074: 8F3D9852
	s_and_b32 s82, s82, 0xffffff                               // 000000008078: 8652FF52 00FFFFFF
	s_mul_i32 s82, s82, s71                                    // 000000008080: 92524752
	s_mul_i32 s61, s60, s61                                    // 000000008084: 923D3D3C
	s_add_u32 s82, s82, s61                                    // 000000008088: 80523D52
	v_mul_lo_u32 v6, v5, s82                                   // 00000000808C: D2850006 0000A505
	v_readlane_b32 s82, v3, 33                                 // 000000008094: D2890052 00014303
	s_lshr_b32 s61, s82, 24                                    // 00000000809C: 8F3D9852
	s_and_b32 s82, s82, 0xffffff                               // 0000000080A0: 8652FF52 00FFFFFF
	s_mul_i32 s82, s82, s71                                    // 0000000080A8: 92524752
	s_mul_i32 s61, s60, s61                                    // 0000000080AC: 923D3D3C
	s_add_u32 s82, s82, s61                                    // 0000000080B0: 80523D52
	v_mul_lo_u32 v7, v4, s82                                   // 0000000080B4: D2850007 0000A504
	v_add_u32_e32 v80, v6, v7                                  // 0000000080BC: 68A00F06
	v_readlane_b32 s82, v3, 34                                 // 0000000080C0: D2890052 00014503
	s_lshr_b32 s61, s82, 24                                    // 0000000080C8: 8F3D9852
	s_and_b32 s82, s82, 0xffffff                               // 0000000080CC: 8652FF52 00FFFFFF
	s_mul_i32 s82, s82, s71                                    // 0000000080D4: 92524752
	s_mul_i32 s61, s60, s61                                    // 0000000080D8: 923D3D3C
	s_add_u32 s82, s82, s61                                    // 0000000080DC: 80523D52
	v_mul_lo_u32 v6, v5, s82                                   // 0000000080E0: D2850006 0000A505
	v_readlane_b32 s82, v3, 35                                 // 0000000080E8: D2890052 00014703
	s_lshr_b32 s61, s82, 24                                    // 0000000080F0: 8F3D9852
	s_and_b32 s82, s82, 0xffffff                               // 0000000080F4: 8652FF52 00FFFFFF
	s_mul_i32 s82, s82, s71                                    // 0000000080FC: 92524752
	s_mul_i32 s61, s60, s61                                    // 000000008100: 923D3D3C
	s_add_u32 s82, s82, s61                                    // 000000008104: 80523D52
	v_mul_lo_u32 v7, v4, s82                                   // 000000008108: D2850007 0000A504
	v_add_u32_e32 v81, v6, v7                                  // 000000008110: 68A20F06
	v_and_b32_e32 v4, 31, v0                                   // 000000008114: 2608009F
	v_lshrrev_b32_e32 v4, 1, v4                                // 000000008118: 20080881
	s_cmp_eq_u32 s88, 0                                        // 00000000811C: BF068058
	s_cselect_b32 s61, 2, 4                                    // 000000008120: 853D8482
	v_mul_lo_u32 v4, v4, s61                                   // 000000008124: D2850004 00007B04
	v_and_b32_e64 v5, v0, 1                                    // 00000000812C: D1130005 00010300
	v_add_u32_e32 v4, v4, v5                                   // 000000008134: 68080B04
	v_lshlrev_b32_e32 v4, 2, v4                                // 000000008138: 24080882
	v_add_u32_e32 v64, v64, v4                                 // 00000000813C: 68800940
	v_add_u32_e32 v65, v65, v4                                 // 000000008140: 68820941
	v_add_u32_e32 v66, v66, v4                                 // 000000008144: 68840942
	;; [unrolled: 1-line block ×3, first 2 shown]
	v_add_u32_e32 v68, v68, v4                                 // 00000000814C: 68880944
	v_add_u32_e32 v69, v69, v4                                 // 000000008150: 688A0945
	v_add_u32_e32 v70, v70, v4                                 // 000000008154: 688C0946
	v_add_u32_e32 v71, v71, v4                                 // 000000008158: 688E0947
	v_add_u32_e32 v72, v72, v4                                 // 00000000815C: 68900948
	v_add_u32_e32 v73, v73, v4                                 // 000000008160: 68920949
	v_add_u32_e32 v74, v74, v4                                 // 000000008164: 6894094A
	v_add_u32_e32 v75, v75, v4                                 // 000000008168: 6896094B
	v_add_u32_e32 v76, v76, v4                                 // 00000000816C: 6898094C
	v_add_u32_e32 v77, v77, v4                                 // 000000008170: 689A094D
	v_add_u32_e32 v78, v78, v4                                 // 000000008174: 689C094E
	v_add_u32_e32 v79, v79, v4                                 // 000000008178: 689E094F
	v_add_u32_e32 v80, v80, v4                                 // 00000000817C: 68A00950
	v_add_u32_e32 v81, v81, v4                                 // 000000008180: 68A20951
	s_waitcnt lgkmcnt(0)                                       // 000000008184: BF8CC07F
	s_barrier                                                  // 000000008188: BF8A0000
	ds_read_b32 v84, v21                                       // 00000000818C: D86C0000 54000015
	ds_read_b32 v85, v21 offset:64                             // 000000008194: D86C0040 55000015
	ds_read_b32 v88, v21 offset:2176                           // 00000000819C: D86C0880 58000015
	ds_read_b32 v89, v21 offset:2240                           // 0000000081A4: D86C08C0 59000015
	ds_read_b32 v92, v21 offset:4352                           // 0000000081AC: D86C1100 5C000015
	ds_read_b32 v93, v21 offset:4416                           // 0000000081B4: D86C1140 5D000015
	ds_read_b32 v96, v21 offset:6528                           // 0000000081BC: D86C1980 60000015
	ds_read_b32 v97, v21 offset:6592                           // 0000000081C4: D86C19C0 61000015
	ds_read_b32 v100, v21 offset:8704                          // 0000000081CC: D86C2200 64000015
	ds_read_b32 v101, v21 offset:8768                          // 0000000081D4: D86C2240 65000015
	ds_read_b32 v104, v21 offset:10880                         // 0000000081DC: D86C2A80 68000015
	ds_read_b32 v105, v21 offset:10944                         // 0000000081E4: D86C2AC0 69000015
	ds_read_b32 v108, v21 offset:13056                         // 0000000081EC: D86C3300 6C000015
	ds_read_b32 v109, v21 offset:13120                         // 0000000081F4: D86C3340 6D000015
	ds_read_b32 v112, v21 offset:15232                         // 0000000081FC: D86C3B80 70000015
	ds_read_b32 v113, v21 offset:15296                         // 000000008204: D86C3BC0 71000015
	ds_read_b32 v116, v21 offset:17408                         // 00000000820C: D86C4400 74000015
	ds_read_b32 v117, v21 offset:17472                         // 000000008214: D86C4440 75000015
	ds_read_b32 v120, v21 offset:19584                         // 00000000821C: D86C4C80 78000015
	ds_read_b32 v121, v21 offset:19648                         // 000000008224: D86C4CC0 79000015
	ds_read_b32 v124, v21 offset:21760                         // 00000000822C: D86C5500 7C000015
	ds_read_b32 v125, v21 offset:21824                         // 000000008234: D86C5540 7D000015
	ds_read_b32 v128, v21 offset:23936                         // 00000000823C: D86C5D80 80000015
	ds_read_b32 v129, v21 offset:24000                         // 000000008244: D86C5DC0 81000015
	ds_read_b32 v132, v21 offset:26112                         // 00000000824C: D86C6600 84000015
	ds_read_b32 v133, v21 offset:26176                         // 000000008254: D86C6640 85000015
	ds_read_b32 v136, v21 offset:28288                         // 00000000825C: D86C6E80 88000015
	ds_read_b32 v137, v21 offset:28352                         // 000000008264: D86C6EC0 89000015
	ds_read_b32 v140, v21 offset:30464                         // 00000000826C: D86C7700 8C000015
	ds_read_b32 v141, v21 offset:30528                         // 000000008274: D86C7740 8D000015
	ds_read_b32 v144, v21 offset:32640                         // 00000000827C: D86C7F80 90000015
	ds_read_b32 v145, v21 offset:32704                         // 000000008284: D86C7FC0 91000015
	ds_read_b32 v148, v21 offset:34816                         // 00000000828C: D86C8800 94000015
	ds_read_b32 v149, v21 offset:34880                         // 000000008294: D86C8840 95000015
	ds_read_b32 v152, v21 offset:36992                         // 00000000829C: D86C9080 98000015
	ds_read_b32 v153, v21 offset:37056                         // 0000000082A4: D86C90C0 99000015
	s_waitcnt lgkmcnt(0)                                       // 0000000082AC: BF8CC07F
	s_mov_b32 s36, -1                                          // 0000000082B0: BEA400C1
	s_mov_b32 s37, -1                                          // 0000000082B4: BEA500C1
	v_mov_b32_e32 v7, 0                                        // 0000000082B8: 7E0E0280
	s_mov_b64 exec, s[36:37]                                   // 0000000082BC: BEFE0124
	v_mov_b32_e32 v6, v64                                      // 0000000082C0: 7E0C0340
	s_mov_b64 s[60:61], 0                                      // 0000000082C4: BEBC0180
	v_readlane_b32 s82, v3, 0                                  // 0000000082C8: D2890052 00010103
	s_and_b32 s82, s82, 0xffffff                               // 0000000082D0: 8652FF52 00FFFFFF
	s_cmp_lt_u32 s82, s66                                      // 0000000082D8: BF0A4252
	s_cselect_b32 s20, s36, s60                                // 0000000082DC: 85143C24
	v_readlane_b32 s82, v3, 1                                  // 0000000082E0: D2890052 00010303
	s_and_b32 s82, s82, 0xffffff                               // 0000000082E8: 8652FF52 00FFFFFF
	s_cmp_lt_u32 s82, s66                                      // 0000000082F0: BF0A4252
	s_cselect_b32 s21, s36, s60                                // 0000000082F4: 85153C24
	s_mov_b64 exec, s[20:21]                                   // 0000000082F8: BEFE0114
	global_atomic_add_f32 v6, v84, s[8:9]                      // 0000000082FC: DD348000 00085406
	global_atomic_add_f32 v6, v88, s[8:9] offset:256           // 000000008304: DD348100 00085806
	s_mov_b64 exec, s[36:37]                                   // 00000000830C: BEFE0124
	v_mov_b32_e32 v6, v65                                      // 000000008310: 7E0C0341
	s_mov_b64 s[60:61], 0                                      // 000000008314: BEBC0180
	v_readlane_b32 s82, v3, 2                                  // 000000008318: D2890052 00010503
	s_and_b32 s82, s82, 0xffffff                               // 000000008320: 8652FF52 00FFFFFF
	s_cmp_lt_u32 s82, s66                                      // 000000008328: BF0A4252
	s_cselect_b32 s20, s36, s60                                // 00000000832C: 85143C24
	v_readlane_b32 s82, v3, 3                                  // 000000008330: D2890052 00010703
	s_and_b32 s82, s82, 0xffffff                               // 000000008338: 8652FF52 00FFFFFF
	s_cmp_lt_u32 s82, s66                                      // 000000008340: BF0A4252
	s_cselect_b32 s21, s36, s60                                // 000000008344: 85153C24
	s_mov_b64 exec, s[20:21]                                   // 000000008348: BEFE0114
	global_atomic_add_f32 v6, v85, s[8:9]                      // 00000000834C: DD348000 00085506
	global_atomic_add_f32 v6, v89, s[8:9] offset:256           // 000000008354: DD348100 00085906
	s_mov_b64 exec, s[36:37]                                   // 00000000835C: BEFE0124
	v_mov_b32_e32 v6, v66                                      // 000000008360: 7E0C0342
	s_mov_b64 s[60:61], 0                                      // 000000008364: BEBC0180
	v_readlane_b32 s82, v3, 4                                  // 000000008368: D2890052 00010903
	s_and_b32 s82, s82, 0xffffff                               // 000000008370: 8652FF52 00FFFFFF
	s_cmp_lt_u32 s82, s66                                      // 000000008378: BF0A4252
	s_cselect_b32 s20, s36, s60                                // 00000000837C: 85143C24
	v_readlane_b32 s82, v3, 5                                  // 000000008380: D2890052 00010B03
	s_and_b32 s82, s82, 0xffffff                               // 000000008388: 8652FF52 00FFFFFF
	s_cmp_lt_u32 s82, s66                                      // 000000008390: BF0A4252
	s_cselect_b32 s21, s36, s60                                // 000000008394: 85153C24
	s_mov_b64 exec, s[20:21]                                   // 000000008398: BEFE0114
	global_atomic_add_f32 v6, v92, s[8:9]                      // 00000000839C: DD348000 00085C06
	global_atomic_add_f32 v6, v96, s[8:9] offset:256           // 0000000083A4: DD348100 00086006
	s_mov_b64 exec, s[36:37]                                   // 0000000083AC: BEFE0124
	v_mov_b32_e32 v6, v67                                      // 0000000083B0: 7E0C0343
	s_mov_b64 s[60:61], 0                                      // 0000000083B4: BEBC0180
	v_readlane_b32 s82, v3, 6                                  // 0000000083B8: D2890052 00010D03
	s_and_b32 s82, s82, 0xffffff                               // 0000000083C0: 8652FF52 00FFFFFF
	s_cmp_lt_u32 s82, s66                                      // 0000000083C8: BF0A4252
	s_cselect_b32 s20, s36, s60                                // 0000000083CC: 85143C24
	v_readlane_b32 s82, v3, 7                                  // 0000000083D0: D2890052 00010F03
	s_and_b32 s82, s82, 0xffffff                               // 0000000083D8: 8652FF52 00FFFFFF
	s_cmp_lt_u32 s82, s66                                      // 0000000083E0: BF0A4252
	s_cselect_b32 s21, s36, s60                                // 0000000083E4: 85153C24
	s_mov_b64 exec, s[20:21]                                   // 0000000083E8: BEFE0114
	global_atomic_add_f32 v6, v93, s[8:9]                      // 0000000083EC: DD348000 00085D06
	global_atomic_add_f32 v6, v97, s[8:9] offset:256           // 0000000083F4: DD348100 00086106
	s_mov_b64 exec, s[36:37]                                   // 0000000083FC: BEFE0124
	v_mov_b32_e32 v6, v68                                      // 000000008400: 7E0C0344
	s_mov_b64 s[60:61], 0                                      // 000000008404: BEBC0180
	v_readlane_b32 s82, v3, 8                                  // 000000008408: D2890052 00011103
	s_and_b32 s82, s82, 0xffffff                               // 000000008410: 8652FF52 00FFFFFF
	s_cmp_lt_u32 s82, s66                                      // 000000008418: BF0A4252
	s_cselect_b32 s20, s36, s60                                // 00000000841C: 85143C24
	v_readlane_b32 s82, v3, 9                                  // 000000008420: D2890052 00011303
	s_and_b32 s82, s82, 0xffffff                               // 000000008428: 8652FF52 00FFFFFF
	s_cmp_lt_u32 s82, s66                                      // 000000008430: BF0A4252
	s_cselect_b32 s21, s36, s60                                // 000000008434: 85153C24
	s_mov_b64 exec, s[20:21]                                   // 000000008438: BEFE0114
	global_atomic_add_f32 v6, v100, s[8:9]                     // 00000000843C: DD348000 00086406
	global_atomic_add_f32 v6, v104, s[8:9] offset:256          // 000000008444: DD348100 00086806
	s_mov_b64 exec, s[36:37]                                   // 00000000844C: BEFE0124
	v_mov_b32_e32 v6, v69                                      // 000000008450: 7E0C0345
	s_mov_b64 s[60:61], 0                                      // 000000008454: BEBC0180
	v_readlane_b32 s82, v3, 10                                 // 000000008458: D2890052 00011503
	s_and_b32 s82, s82, 0xffffff                               // 000000008460: 8652FF52 00FFFFFF
	s_cmp_lt_u32 s82, s66                                      // 000000008468: BF0A4252
	s_cselect_b32 s20, s36, s60                                // 00000000846C: 85143C24
	v_readlane_b32 s82, v3, 11                                 // 000000008470: D2890052 00011703
	s_and_b32 s82, s82, 0xffffff                               // 000000008478: 8652FF52 00FFFFFF
	s_cmp_lt_u32 s82, s66                                      // 000000008480: BF0A4252
	s_cselect_b32 s21, s36, s60                                // 000000008484: 85153C24
	s_mov_b64 exec, s[20:21]                                   // 000000008488: BEFE0114
	global_atomic_add_f32 v6, v101, s[8:9]                     // 00000000848C: DD348000 00086506
	global_atomic_add_f32 v6, v105, s[8:9] offset:256          // 000000008494: DD348100 00086906
	s_mov_b64 exec, s[36:37]                                   // 00000000849C: BEFE0124
	v_mov_b32_e32 v6, v70                                      // 0000000084A0: 7E0C0346
	s_mov_b64 s[60:61], 0                                      // 0000000084A4: BEBC0180
	v_readlane_b32 s82, v3, 12                                 // 0000000084A8: D2890052 00011903
	s_and_b32 s82, s82, 0xffffff                               // 0000000084B0: 8652FF52 00FFFFFF
	s_cmp_lt_u32 s82, s66                                      // 0000000084B8: BF0A4252
	s_cselect_b32 s20, s36, s60                                // 0000000084BC: 85143C24
	v_readlane_b32 s82, v3, 13                                 // 0000000084C0: D2890052 00011B03
	s_and_b32 s82, s82, 0xffffff                               // 0000000084C8: 8652FF52 00FFFFFF
	s_cmp_lt_u32 s82, s66                                      // 0000000084D0: BF0A4252
	s_cselect_b32 s21, s36, s60                                // 0000000084D4: 85153C24
	s_mov_b64 exec, s[20:21]                                   // 0000000084D8: BEFE0114
	global_atomic_add_f32 v6, v108, s[8:9]                     // 0000000084DC: DD348000 00086C06
	global_atomic_add_f32 v6, v112, s[8:9] offset:256          // 0000000084E4: DD348100 00087006
	s_mov_b64 exec, s[36:37]                                   // 0000000084EC: BEFE0124
	v_mov_b32_e32 v6, v71                                      // 0000000084F0: 7E0C0347
	s_mov_b64 s[60:61], 0                                      // 0000000084F4: BEBC0180
	v_readlane_b32 s82, v3, 14                                 // 0000000084F8: D2890052 00011D03
	s_and_b32 s82, s82, 0xffffff                               // 000000008500: 8652FF52 00FFFFFF
	s_cmp_lt_u32 s82, s66                                      // 000000008508: BF0A4252
	s_cselect_b32 s20, s36, s60                                // 00000000850C: 85143C24
	v_readlane_b32 s82, v3, 15                                 // 000000008510: D2890052 00011F03
	s_and_b32 s82, s82, 0xffffff                               // 000000008518: 8652FF52 00FFFFFF
	s_cmp_lt_u32 s82, s66                                      // 000000008520: BF0A4252
	s_cselect_b32 s21, s36, s60                                // 000000008524: 85153C24
	s_mov_b64 exec, s[20:21]                                   // 000000008528: BEFE0114
	global_atomic_add_f32 v6, v109, s[8:9]                     // 00000000852C: DD348000 00086D06
	global_atomic_add_f32 v6, v113, s[8:9] offset:256          // 000000008534: DD348100 00087106
	s_mov_b64 exec, s[36:37]                                   // 00000000853C: BEFE0124
	v_mov_b32_e32 v6, v72                                      // 000000008540: 7E0C0348
	s_mov_b64 s[60:61], 0                                      // 000000008544: BEBC0180
	v_readlane_b32 s82, v3, 16                                 // 000000008548: D2890052 00012103
	s_and_b32 s82, s82, 0xffffff                               // 000000008550: 8652FF52 00FFFFFF
	s_cmp_lt_u32 s82, s66                                      // 000000008558: BF0A4252
	s_cselect_b32 s20, s36, s60                                // 00000000855C: 85143C24
	v_readlane_b32 s82, v3, 17                                 // 000000008560: D2890052 00012303
	s_and_b32 s82, s82, 0xffffff                               // 000000008568: 8652FF52 00FFFFFF
	s_cmp_lt_u32 s82, s66                                      // 000000008570: BF0A4252
	s_cselect_b32 s21, s36, s60                                // 000000008574: 85153C24
	s_mov_b64 exec, s[20:21]                                   // 000000008578: BEFE0114
	global_atomic_add_f32 v6, v116, s[8:9]                     // 00000000857C: DD348000 00087406
	global_atomic_add_f32 v6, v120, s[8:9] offset:256          // 000000008584: DD348100 00087806
	s_mov_b64 exec, s[36:37]                                   // 00000000858C: BEFE0124
	v_mov_b32_e32 v6, v73                                      // 000000008590: 7E0C0349
	s_mov_b64 s[60:61], 0                                      // 000000008594: BEBC0180
	v_readlane_b32 s82, v3, 18                                 // 000000008598: D2890052 00012503
	s_and_b32 s82, s82, 0xffffff                               // 0000000085A0: 8652FF52 00FFFFFF
	s_cmp_lt_u32 s82, s66                                      // 0000000085A8: BF0A4252
	s_cselect_b32 s20, s36, s60                                // 0000000085AC: 85143C24
	v_readlane_b32 s82, v3, 19                                 // 0000000085B0: D2890052 00012703
	s_and_b32 s82, s82, 0xffffff                               // 0000000085B8: 8652FF52 00FFFFFF
	s_cmp_lt_u32 s82, s66                                      // 0000000085C0: BF0A4252
	s_cselect_b32 s21, s36, s60                                // 0000000085C4: 85153C24
	s_mov_b64 exec, s[20:21]                                   // 0000000085C8: BEFE0114
	global_atomic_add_f32 v6, v117, s[8:9]                     // 0000000085CC: DD348000 00087506
	global_atomic_add_f32 v6, v121, s[8:9] offset:256          // 0000000085D4: DD348100 00087906
	s_mov_b64 exec, s[36:37]                                   // 0000000085DC: BEFE0124
	v_mov_b32_e32 v6, v74                                      // 0000000085E0: 7E0C034A
	s_mov_b64 s[60:61], 0                                      // 0000000085E4: BEBC0180
	v_readlane_b32 s82, v3, 20                                 // 0000000085E8: D2890052 00012903
	s_and_b32 s82, s82, 0xffffff                               // 0000000085F0: 8652FF52 00FFFFFF
	s_cmp_lt_u32 s82, s66                                      // 0000000085F8: BF0A4252
	s_cselect_b32 s20, s36, s60                                // 0000000085FC: 85143C24
	v_readlane_b32 s82, v3, 21                                 // 000000008600: D2890052 00012B03
	s_and_b32 s82, s82, 0xffffff                               // 000000008608: 8652FF52 00FFFFFF
	s_cmp_lt_u32 s82, s66                                      // 000000008610: BF0A4252
	s_cselect_b32 s21, s36, s60                                // 000000008614: 85153C24
	s_mov_b64 exec, s[20:21]                                   // 000000008618: BEFE0114
	global_atomic_add_f32 v6, v124, s[8:9]                     // 00000000861C: DD348000 00087C06
	global_atomic_add_f32 v6, v128, s[8:9] offset:256          // 000000008624: DD348100 00088006
	s_mov_b64 exec, s[36:37]                                   // 00000000862C: BEFE0124
	v_mov_b32_e32 v6, v75                                      // 000000008630: 7E0C034B
	s_mov_b64 s[60:61], 0                                      // 000000008634: BEBC0180
	v_readlane_b32 s82, v3, 22                                 // 000000008638: D2890052 00012D03
	s_and_b32 s82, s82, 0xffffff                               // 000000008640: 8652FF52 00FFFFFF
	s_cmp_lt_u32 s82, s66                                      // 000000008648: BF0A4252
	s_cselect_b32 s20, s36, s60                                // 00000000864C: 85143C24
	v_readlane_b32 s82, v3, 23                                 // 000000008650: D2890052 00012F03
	s_and_b32 s82, s82, 0xffffff                               // 000000008658: 8652FF52 00FFFFFF
	s_cmp_lt_u32 s82, s66                                      // 000000008660: BF0A4252
	s_cselect_b32 s21, s36, s60                                // 000000008664: 85153C24
	s_mov_b64 exec, s[20:21]                                   // 000000008668: BEFE0114
	global_atomic_add_f32 v6, v125, s[8:9]                     // 00000000866C: DD348000 00087D06
	global_atomic_add_f32 v6, v129, s[8:9] offset:256          // 000000008674: DD348100 00088106
	s_mov_b64 exec, s[36:37]                                   // 00000000867C: BEFE0124
	v_mov_b32_e32 v6, v76                                      // 000000008680: 7E0C034C
	s_mov_b64 s[60:61], 0                                      // 000000008684: BEBC0180
	v_readlane_b32 s82, v3, 24                                 // 000000008688: D2890052 00013103
	s_and_b32 s82, s82, 0xffffff                               // 000000008690: 8652FF52 00FFFFFF
	s_cmp_lt_u32 s82, s66                                      // 000000008698: BF0A4252
	s_cselect_b32 s20, s36, s60                                // 00000000869C: 85143C24
	v_readlane_b32 s82, v3, 25                                 // 0000000086A0: D2890052 00013303
	s_and_b32 s82, s82, 0xffffff                               // 0000000086A8: 8652FF52 00FFFFFF
	s_cmp_lt_u32 s82, s66                                      // 0000000086B0: BF0A4252
	s_cselect_b32 s21, s36, s60                                // 0000000086B4: 85153C24
	s_mov_b64 exec, s[20:21]                                   // 0000000086B8: BEFE0114
	global_atomic_add_f32 v6, v132, s[8:9]                     // 0000000086BC: DD348000 00088406
	global_atomic_add_f32 v6, v136, s[8:9] offset:256          // 0000000086C4: DD348100 00088806
	s_mov_b64 exec, s[36:37]                                   // 0000000086CC: BEFE0124
	v_mov_b32_e32 v6, v77                                      // 0000000086D0: 7E0C034D
	s_mov_b64 s[60:61], 0                                      // 0000000086D4: BEBC0180
	v_readlane_b32 s82, v3, 26                                 // 0000000086D8: D2890052 00013503
	s_and_b32 s82, s82, 0xffffff                               // 0000000086E0: 8652FF52 00FFFFFF
	s_cmp_lt_u32 s82, s66                                      // 0000000086E8: BF0A4252
	s_cselect_b32 s20, s36, s60                                // 0000000086EC: 85143C24
	v_readlane_b32 s82, v3, 27                                 // 0000000086F0: D2890052 00013703
	s_and_b32 s82, s82, 0xffffff                               // 0000000086F8: 8652FF52 00FFFFFF
	s_cmp_lt_u32 s82, s66                                      // 000000008700: BF0A4252
	s_cselect_b32 s21, s36, s60                                // 000000008704: 85153C24
	s_mov_b64 exec, s[20:21]                                   // 000000008708: BEFE0114
	global_atomic_add_f32 v6, v133, s[8:9]                     // 00000000870C: DD348000 00088506
	global_atomic_add_f32 v6, v137, s[8:9] offset:256          // 000000008714: DD348100 00088906
	s_mov_b64 exec, s[36:37]                                   // 00000000871C: BEFE0124
	v_mov_b32_e32 v6, v78                                      // 000000008720: 7E0C034E
	s_mov_b64 s[60:61], 0                                      // 000000008724: BEBC0180
	v_readlane_b32 s82, v3, 28                                 // 000000008728: D2890052 00013903
	s_and_b32 s82, s82, 0xffffff                               // 000000008730: 8652FF52 00FFFFFF
	s_cmp_lt_u32 s82, s66                                      // 000000008738: BF0A4252
	s_cselect_b32 s20, s36, s60                                // 00000000873C: 85143C24
	v_readlane_b32 s82, v3, 29                                 // 000000008740: D2890052 00013B03
	s_and_b32 s82, s82, 0xffffff                               // 000000008748: 8652FF52 00FFFFFF
	s_cmp_lt_u32 s82, s66                                      // 000000008750: BF0A4252
	s_cselect_b32 s21, s36, s60                                // 000000008754: 85153C24
	s_mov_b64 exec, s[20:21]                                   // 000000008758: BEFE0114
	global_atomic_add_f32 v6, v140, s[8:9]                     // 00000000875C: DD348000 00088C06
	global_atomic_add_f32 v6, v144, s[8:9] offset:256          // 000000008764: DD348100 00089006
	s_mov_b64 exec, s[36:37]                                   // 00000000876C: BEFE0124
	v_mov_b32_e32 v6, v79                                      // 000000008770: 7E0C034F
	s_mov_b64 s[60:61], 0                                      // 000000008774: BEBC0180
	v_readlane_b32 s82, v3, 30                                 // 000000008778: D2890052 00013D03
	s_and_b32 s82, s82, 0xffffff                               // 000000008780: 8652FF52 00FFFFFF
	s_cmp_lt_u32 s82, s66                                      // 000000008788: BF0A4252
	s_cselect_b32 s20, s36, s60                                // 00000000878C: 85143C24
	v_readlane_b32 s82, v3, 31                                 // 000000008790: D2890052 00013F03
	s_and_b32 s82, s82, 0xffffff                               // 000000008798: 8652FF52 00FFFFFF
	s_cmp_lt_u32 s82, s66                                      // 0000000087A0: BF0A4252
	s_cselect_b32 s21, s36, s60                                // 0000000087A4: 85153C24
	s_mov_b64 exec, s[20:21]                                   // 0000000087A8: BEFE0114
	global_atomic_add_f32 v6, v141, s[8:9]                     // 0000000087AC: DD348000 00088D06
	global_atomic_add_f32 v6, v145, s[8:9] offset:256          // 0000000087B4: DD348100 00089106
	s_mov_b64 exec, s[36:37]                                   // 0000000087BC: BEFE0124
	v_mov_b32_e32 v6, v80                                      // 0000000087C0: 7E0C0350
	s_mov_b64 s[60:61], 0                                      // 0000000087C4: BEBC0180
	v_readlane_b32 s82, v3, 32                                 // 0000000087C8: D2890052 00014103
	s_and_b32 s82, s82, 0xffffff                               // 0000000087D0: 8652FF52 00FFFFFF
	s_cmp_lt_u32 s82, s66                                      // 0000000087D8: BF0A4252
	s_cselect_b32 s20, s36, s60                                // 0000000087DC: 85143C24
	v_readlane_b32 s82, v3, 33                                 // 0000000087E0: D2890052 00014303
	s_and_b32 s82, s82, 0xffffff                               // 0000000087E8: 8652FF52 00FFFFFF
	s_cmp_lt_u32 s82, s66                                      // 0000000087F0: BF0A4252
	s_cselect_b32 s21, s36, s60                                // 0000000087F4: 85153C24
	s_mov_b64 exec, s[20:21]                                   // 0000000087F8: BEFE0114
	global_atomic_add_f32 v6, v148, s[8:9]                     // 0000000087FC: DD348000 00089406
	global_atomic_add_f32 v6, v152, s[8:9] offset:256          // 000000008804: DD348100 00089806
	s_mov_b64 exec, s[36:37]                                   // 00000000880C: BEFE0124
	v_mov_b32_e32 v6, v81                                      // 000000008810: 7E0C0351
	s_mov_b64 s[60:61], 0                                      // 000000008814: BEBC0180
	v_readlane_b32 s82, v3, 34                                 // 000000008818: D2890052 00014503
	s_and_b32 s82, s82, 0xffffff                               // 000000008820: 8652FF52 00FFFFFF
	s_cmp_lt_u32 s82, s66                                      // 000000008828: BF0A4252
	s_cselect_b32 s20, s36, s60                                // 00000000882C: 85143C24
	v_readlane_b32 s82, v3, 35                                 // 000000008830: D2890052 00014703
	s_and_b32 s82, s82, 0xffffff                               // 000000008838: 8652FF52 00FFFFFF
	s_cmp_lt_u32 s82, s66                                      // 000000008840: BF0A4252
	s_cselect_b32 s21, s36, s60                                // 000000008844: 85153C24
	s_mov_b64 exec, s[20:21]                                   // 000000008848: BEFE0114
	global_atomic_add_f32 v6, v149, s[8:9]                     // 00000000884C: DD348000 00089506
	global_atomic_add_f32 v6, v153, s[8:9] offset:256          // 000000008854: DD348100 00089906
	s_mov_b64 exec, s[36:37]                                   // 00000000885C: BEFE0124
	ds_write_b64 v20, v[86:87]                                 // 000000008860: D89A0000 00005614
	ds_write_b64 v20, v[90:91] offset:4352                     // 000000008868: D89A1100 00005A14
	ds_write_b64 v20, v[94:95] offset:8704                     // 000000008870: D89A2200 00005E14
	ds_write_b64 v20, v[98:99] offset:13056                    // 000000008878: D89A3300 00006214
	ds_write_b64 v20, v[102:103] offset:17408                  // 000000008880: D89A4400 00006614
	ds_write_b64 v20, v[106:107] offset:21760                  // 000000008888: D89A5500 00006A14
	ds_write_b64 v20, v[110:111] offset:26112                  // 000000008890: D89A6600 00006E14
	ds_write_b64 v20, v[114:115] offset:30464                  // 000000008898: D89A7700 00007214
	ds_write_b64 v20, v[118:119] offset:34816                  // 0000000088A0: D89A8800 00007614
	ds_write_b64 v20, v[122:123] offset:2176                   // 0000000088A8: D89A0880 00007A14
	ds_write_b64 v20, v[126:127] offset:6528                   // 0000000088B0: D89A1980 00007E14
	ds_write_b64 v20, v[130:131] offset:10880                  // 0000000088B8: D89A2A80 00008214
	ds_write_b64 v20, v[134:135] offset:15232                  // 0000000088C0: D89A3B80 00008614
	ds_write_b64 v20, v[138:139] offset:19584                  // 0000000088C8: D89A4C80 00008A14
	ds_write_b64 v20, v[142:143] offset:23936                  // 0000000088D0: D89A5D80 00008E14
	ds_write_b64 v20, v[146:147] offset:28288                  // 0000000088D8: D89A6E80 00009214
	ds_write_b64 v20, v[150:151] offset:32640                  // 0000000088E0: D89A7F80 00009614
	ds_write_b64 v20, v[154:155] offset:36992                  // 0000000088E8: D89A9080 00009A14
	s_waitcnt lgkmcnt(0)                                       // 0000000088F0: BF8CC07F
	s_barrier                                                  // 0000000088F4: BF8A0000
	ds_read_b32 v86, v21                                       // 0000000088F8: D86C0000 56000015
	ds_read_b32 v87, v21 offset:64                             // 000000008900: D86C0040 57000015
	ds_read_b32 v90, v21 offset:2176                           // 000000008908: D86C0880 5A000015
	ds_read_b32 v91, v21 offset:2240                           // 000000008910: D86C08C0 5B000015
	ds_read_b32 v94, v21 offset:4352                           // 000000008918: D86C1100 5E000015
	ds_read_b32 v95, v21 offset:4416                           // 000000008920: D86C1140 5F000015
	ds_read_b32 v98, v21 offset:6528                           // 000000008928: D86C1980 62000015
	ds_read_b32 v99, v21 offset:6592                           // 000000008930: D86C19C0 63000015
	ds_read_b32 v102, v21 offset:8704                          // 000000008938: D86C2200 66000015
	ds_read_b32 v103, v21 offset:8768                          // 000000008940: D86C2240 67000015
	ds_read_b32 v106, v21 offset:10880                         // 000000008948: D86C2A80 6A000015
	ds_read_b32 v107, v21 offset:10944                         // 000000008950: D86C2AC0 6B000015
	ds_read_b32 v110, v21 offset:13056                         // 000000008958: D86C3300 6E000015
	ds_read_b32 v111, v21 offset:13120                         // 000000008960: D86C3340 6F000015
	ds_read_b32 v114, v21 offset:15232                         // 000000008968: D86C3B80 72000015
	ds_read_b32 v115, v21 offset:15296                         // 000000008970: D86C3BC0 73000015
	ds_read_b32 v118, v21 offset:17408                         // 000000008978: D86C4400 76000015
	ds_read_b32 v119, v21 offset:17472                         // 000000008980: D86C4440 77000015
	ds_read_b32 v122, v21 offset:19584                         // 000000008988: D86C4C80 7A000015
	ds_read_b32 v123, v21 offset:19648                         // 000000008990: D86C4CC0 7B000015
	ds_read_b32 v126, v21 offset:21760                         // 000000008998: D86C5500 7E000015
	ds_read_b32 v127, v21 offset:21824                         // 0000000089A0: D86C5540 7F000015
	ds_read_b32 v130, v21 offset:23936                         // 0000000089A8: D86C5D80 82000015
	ds_read_b32 v131, v21 offset:24000                         // 0000000089B0: D86C5DC0 83000015
	ds_read_b32 v134, v21 offset:26112                         // 0000000089B8: D86C6600 86000015
	ds_read_b32 v135, v21 offset:26176                         // 0000000089C0: D86C6640 87000015
	ds_read_b32 v138, v21 offset:28288                         // 0000000089C8: D86C6E80 8A000015
	ds_read_b32 v139, v21 offset:28352                         // 0000000089D0: D86C6EC0 8B000015
	ds_read_b32 v142, v21 offset:30464                         // 0000000089D8: D86C7700 8E000015
	ds_read_b32 v143, v21 offset:30528                         // 0000000089E0: D86C7740 8F000015
	ds_read_b32 v146, v21 offset:32640                         // 0000000089E8: D86C7F80 92000015
	ds_read_b32 v147, v21 offset:32704                         // 0000000089F0: D86C7FC0 93000015
	ds_read_b32 v150, v21 offset:34816                         // 0000000089F8: D86C8800 96000015
	ds_read_b32 v151, v21 offset:34880                         // 000000008A00: D86C8840 97000015
	ds_read_b32 v154, v21 offset:36992                         // 000000008A08: D86C9080 9A000015
	ds_read_b32 v155, v21 offset:37056                         // 000000008A10: D86C90C0 9B000015
	s_waitcnt lgkmcnt(0)                                       // 000000008A18: BF8CC07F
	v_mov_b32_e32 v7, 0                                        // 000000008A1C: 7E0E0280
	s_mov_b64 exec, s[36:37]                                   // 000000008A20: BEFE0124
	v_mov_b32_e32 v6, v64                                      // 000000008A24: 7E0C0340
	s_mov_b64 s[60:61], 0                                      // 000000008A28: BEBC0180
	v_readlane_b32 s82, v3, 0                                  // 000000008A2C: D2890052 00010103
	s_and_b32 s82, s82, 0xffffff                               // 000000008A34: 8652FF52 00FFFFFF
	s_cmp_lt_u32 s82, s66                                      // 000000008A3C: BF0A4252
	s_cselect_b32 s20, s36, s60                                // 000000008A40: 85143C24
	v_readlane_b32 s82, v3, 1                                  // 000000008A44: D2890052 00010303
	s_and_b32 s82, s82, 0xffffff                               // 000000008A4C: 8652FF52 00FFFFFF
	s_cmp_lt_u32 s82, s66                                      // 000000008A54: BF0A4252
	s_cselect_b32 s21, s36, s60                                // 000000008A58: 85153C24
	s_mov_b64 exec, s[20:21]                                   // 000000008A5C: BEFE0114
	global_atomic_add_f32 v6, v86, s[8:9] offset:8             // 000000008A60: DD348008 00085606
	global_atomic_add_f32 v6, v90, s[8:9] offset:264           // 000000008A68: DD348108 00085A06
	s_mov_b64 exec, s[36:37]                                   // 000000008A70: BEFE0124
	v_mov_b32_e32 v6, v65                                      // 000000008A74: 7E0C0341
	s_mov_b64 s[60:61], 0                                      // 000000008A78: BEBC0180
	v_readlane_b32 s82, v3, 2                                  // 000000008A7C: D2890052 00010503
	s_and_b32 s82, s82, 0xffffff                               // 000000008A84: 8652FF52 00FFFFFF
	s_cmp_lt_u32 s82, s66                                      // 000000008A8C: BF0A4252
	s_cselect_b32 s20, s36, s60                                // 000000008A90: 85143C24
	v_readlane_b32 s82, v3, 3                                  // 000000008A94: D2890052 00010703
	s_and_b32 s82, s82, 0xffffff                               // 000000008A9C: 8652FF52 00FFFFFF
	s_cmp_lt_u32 s82, s66                                      // 000000008AA4: BF0A4252
	s_cselect_b32 s21, s36, s60                                // 000000008AA8: 85153C24
	s_mov_b64 exec, s[20:21]                                   // 000000008AAC: BEFE0114
	global_atomic_add_f32 v6, v87, s[8:9] offset:8             // 000000008AB0: DD348008 00085706
	global_atomic_add_f32 v6, v91, s[8:9] offset:264           // 000000008AB8: DD348108 00085B06
	s_mov_b64 exec, s[36:37]                                   // 000000008AC0: BEFE0124
	v_mov_b32_e32 v6, v66                                      // 000000008AC4: 7E0C0342
	s_mov_b64 s[60:61], 0                                      // 000000008AC8: BEBC0180
	v_readlane_b32 s82, v3, 4                                  // 000000008ACC: D2890052 00010903
	s_and_b32 s82, s82, 0xffffff                               // 000000008AD4: 8652FF52 00FFFFFF
	s_cmp_lt_u32 s82, s66                                      // 000000008ADC: BF0A4252
	s_cselect_b32 s20, s36, s60                                // 000000008AE0: 85143C24
	v_readlane_b32 s82, v3, 5                                  // 000000008AE4: D2890052 00010B03
	s_and_b32 s82, s82, 0xffffff                               // 000000008AEC: 8652FF52 00FFFFFF
	s_cmp_lt_u32 s82, s66                                      // 000000008AF4: BF0A4252
	s_cselect_b32 s21, s36, s60                                // 000000008AF8: 85153C24
	s_mov_b64 exec, s[20:21]                                   // 000000008AFC: BEFE0114
	global_atomic_add_f32 v6, v94, s[8:9] offset:8             // 000000008B00: DD348008 00085E06
	global_atomic_add_f32 v6, v98, s[8:9] offset:264           // 000000008B08: DD348108 00086206
	s_mov_b64 exec, s[36:37]                                   // 000000008B10: BEFE0124
	v_mov_b32_e32 v6, v67                                      // 000000008B14: 7E0C0343
	s_mov_b64 s[60:61], 0                                      // 000000008B18: BEBC0180
	v_readlane_b32 s82, v3, 6                                  // 000000008B1C: D2890052 00010D03
	s_and_b32 s82, s82, 0xffffff                               // 000000008B24: 8652FF52 00FFFFFF
	s_cmp_lt_u32 s82, s66                                      // 000000008B2C: BF0A4252
	s_cselect_b32 s20, s36, s60                                // 000000008B30: 85143C24
	v_readlane_b32 s82, v3, 7                                  // 000000008B34: D2890052 00010F03
	s_and_b32 s82, s82, 0xffffff                               // 000000008B3C: 8652FF52 00FFFFFF
	s_cmp_lt_u32 s82, s66                                      // 000000008B44: BF0A4252
	s_cselect_b32 s21, s36, s60                                // 000000008B48: 85153C24
	s_mov_b64 exec, s[20:21]                                   // 000000008B4C: BEFE0114
	global_atomic_add_f32 v6, v95, s[8:9] offset:8             // 000000008B50: DD348008 00085F06
	global_atomic_add_f32 v6, v99, s[8:9] offset:264           // 000000008B58: DD348108 00086306
	s_mov_b64 exec, s[36:37]                                   // 000000008B60: BEFE0124
	v_mov_b32_e32 v6, v68                                      // 000000008B64: 7E0C0344
	s_mov_b64 s[60:61], 0                                      // 000000008B68: BEBC0180
	v_readlane_b32 s82, v3, 8                                  // 000000008B6C: D2890052 00011103
	s_and_b32 s82, s82, 0xffffff                               // 000000008B74: 8652FF52 00FFFFFF
	s_cmp_lt_u32 s82, s66                                      // 000000008B7C: BF0A4252
	s_cselect_b32 s20, s36, s60                                // 000000008B80: 85143C24
	v_readlane_b32 s82, v3, 9                                  // 000000008B84: D2890052 00011303
	s_and_b32 s82, s82, 0xffffff                               // 000000008B8C: 8652FF52 00FFFFFF
	s_cmp_lt_u32 s82, s66                                      // 000000008B94: BF0A4252
	s_cselect_b32 s21, s36, s60                                // 000000008B98: 85153C24
	s_mov_b64 exec, s[20:21]                                   // 000000008B9C: BEFE0114
	global_atomic_add_f32 v6, v102, s[8:9] offset:8            // 000000008BA0: DD348008 00086606
	global_atomic_add_f32 v6, v106, s[8:9] offset:264          // 000000008BA8: DD348108 00086A06
	s_mov_b64 exec, s[36:37]                                   // 000000008BB0: BEFE0124
	v_mov_b32_e32 v6, v69                                      // 000000008BB4: 7E0C0345
	s_mov_b64 s[60:61], 0                                      // 000000008BB8: BEBC0180
	v_readlane_b32 s82, v3, 10                                 // 000000008BBC: D2890052 00011503
	s_and_b32 s82, s82, 0xffffff                               // 000000008BC4: 8652FF52 00FFFFFF
	s_cmp_lt_u32 s82, s66                                      // 000000008BCC: BF0A4252
	s_cselect_b32 s20, s36, s60                                // 000000008BD0: 85143C24
	v_readlane_b32 s82, v3, 11                                 // 000000008BD4: D2890052 00011703
	s_and_b32 s82, s82, 0xffffff                               // 000000008BDC: 8652FF52 00FFFFFF
	s_cmp_lt_u32 s82, s66                                      // 000000008BE4: BF0A4252
	s_cselect_b32 s21, s36, s60                                // 000000008BE8: 85153C24
	s_mov_b64 exec, s[20:21]                                   // 000000008BEC: BEFE0114
	global_atomic_add_f32 v6, v103, s[8:9] offset:8            // 000000008BF0: DD348008 00086706
	global_atomic_add_f32 v6, v107, s[8:9] offset:264          // 000000008BF8: DD348108 00086B06
	s_mov_b64 exec, s[36:37]                                   // 000000008C00: BEFE0124
	v_mov_b32_e32 v6, v70                                      // 000000008C04: 7E0C0346
	s_mov_b64 s[60:61], 0                                      // 000000008C08: BEBC0180
	v_readlane_b32 s82, v3, 12                                 // 000000008C0C: D2890052 00011903
	s_and_b32 s82, s82, 0xffffff                               // 000000008C14: 8652FF52 00FFFFFF
	s_cmp_lt_u32 s82, s66                                      // 000000008C1C: BF0A4252
	s_cselect_b32 s20, s36, s60                                // 000000008C20: 85143C24
	v_readlane_b32 s82, v3, 13                                 // 000000008C24: D2890052 00011B03
	s_and_b32 s82, s82, 0xffffff                               // 000000008C2C: 8652FF52 00FFFFFF
	s_cmp_lt_u32 s82, s66                                      // 000000008C34: BF0A4252
	s_cselect_b32 s21, s36, s60                                // 000000008C38: 85153C24
	s_mov_b64 exec, s[20:21]                                   // 000000008C3C: BEFE0114
	global_atomic_add_f32 v6, v110, s[8:9] offset:8            // 000000008C40: DD348008 00086E06
	global_atomic_add_f32 v6, v114, s[8:9] offset:264          // 000000008C48: DD348108 00087206
	s_mov_b64 exec, s[36:37]                                   // 000000008C50: BEFE0124
	v_mov_b32_e32 v6, v71                                      // 000000008C54: 7E0C0347
	s_mov_b64 s[60:61], 0                                      // 000000008C58: BEBC0180
	v_readlane_b32 s82, v3, 14                                 // 000000008C5C: D2890052 00011D03
	s_and_b32 s82, s82, 0xffffff                               // 000000008C64: 8652FF52 00FFFFFF
	s_cmp_lt_u32 s82, s66                                      // 000000008C6C: BF0A4252
	s_cselect_b32 s20, s36, s60                                // 000000008C70: 85143C24
	v_readlane_b32 s82, v3, 15                                 // 000000008C74: D2890052 00011F03
	s_and_b32 s82, s82, 0xffffff                               // 000000008C7C: 8652FF52 00FFFFFF
	s_cmp_lt_u32 s82, s66                                      // 000000008C84: BF0A4252
	s_cselect_b32 s21, s36, s60                                // 000000008C88: 85153C24
	s_mov_b64 exec, s[20:21]                                   // 000000008C8C: BEFE0114
	global_atomic_add_f32 v6, v111, s[8:9] offset:8            // 000000008C90: DD348008 00086F06
	global_atomic_add_f32 v6, v115, s[8:9] offset:264          // 000000008C98: DD348108 00087306
	s_mov_b64 exec, s[36:37]                                   // 000000008CA0: BEFE0124
	v_mov_b32_e32 v6, v72                                      // 000000008CA4: 7E0C0348
	s_mov_b64 s[60:61], 0                                      // 000000008CA8: BEBC0180
	v_readlane_b32 s82, v3, 16                                 // 000000008CAC: D2890052 00012103
	s_and_b32 s82, s82, 0xffffff                               // 000000008CB4: 8652FF52 00FFFFFF
	s_cmp_lt_u32 s82, s66                                      // 000000008CBC: BF0A4252
	s_cselect_b32 s20, s36, s60                                // 000000008CC0: 85143C24
	v_readlane_b32 s82, v3, 17                                 // 000000008CC4: D2890052 00012303
	s_and_b32 s82, s82, 0xffffff                               // 000000008CCC: 8652FF52 00FFFFFF
	s_cmp_lt_u32 s82, s66                                      // 000000008CD4: BF0A4252
	s_cselect_b32 s21, s36, s60                                // 000000008CD8: 85153C24
	s_mov_b64 exec, s[20:21]                                   // 000000008CDC: BEFE0114
	global_atomic_add_f32 v6, v118, s[8:9] offset:8            // 000000008CE0: DD348008 00087606
	global_atomic_add_f32 v6, v122, s[8:9] offset:264          // 000000008CE8: DD348108 00087A06
	s_mov_b64 exec, s[36:37]                                   // 000000008CF0: BEFE0124
	v_mov_b32_e32 v6, v73                                      // 000000008CF4: 7E0C0349
	s_mov_b64 s[60:61], 0                                      // 000000008CF8: BEBC0180
	v_readlane_b32 s82, v3, 18                                 // 000000008CFC: D2890052 00012503
	s_and_b32 s82, s82, 0xffffff                               // 000000008D04: 8652FF52 00FFFFFF
	s_cmp_lt_u32 s82, s66                                      // 000000008D0C: BF0A4252
	s_cselect_b32 s20, s36, s60                                // 000000008D10: 85143C24
	v_readlane_b32 s82, v3, 19                                 // 000000008D14: D2890052 00012703
	s_and_b32 s82, s82, 0xffffff                               // 000000008D1C: 8652FF52 00FFFFFF
	s_cmp_lt_u32 s82, s66                                      // 000000008D24: BF0A4252
	s_cselect_b32 s21, s36, s60                                // 000000008D28: 85153C24
	s_mov_b64 exec, s[20:21]                                   // 000000008D2C: BEFE0114
	global_atomic_add_f32 v6, v119, s[8:9] offset:8            // 000000008D30: DD348008 00087706
	global_atomic_add_f32 v6, v123, s[8:9] offset:264          // 000000008D38: DD348108 00087B06
	s_mov_b64 exec, s[36:37]                                   // 000000008D40: BEFE0124
	v_mov_b32_e32 v6, v74                                      // 000000008D44: 7E0C034A
	s_mov_b64 s[60:61], 0                                      // 000000008D48: BEBC0180
	v_readlane_b32 s82, v3, 20                                 // 000000008D4C: D2890052 00012903
	s_and_b32 s82, s82, 0xffffff                               // 000000008D54: 8652FF52 00FFFFFF
	s_cmp_lt_u32 s82, s66                                      // 000000008D5C: BF0A4252
	s_cselect_b32 s20, s36, s60                                // 000000008D60: 85143C24
	v_readlane_b32 s82, v3, 21                                 // 000000008D64: D2890052 00012B03
	s_and_b32 s82, s82, 0xffffff                               // 000000008D6C: 8652FF52 00FFFFFF
	s_cmp_lt_u32 s82, s66                                      // 000000008D74: BF0A4252
	s_cselect_b32 s21, s36, s60                                // 000000008D78: 85153C24
	s_mov_b64 exec, s[20:21]                                   // 000000008D7C: BEFE0114
	global_atomic_add_f32 v6, v126, s[8:9] offset:8            // 000000008D80: DD348008 00087E06
	global_atomic_add_f32 v6, v130, s[8:9] offset:264          // 000000008D88: DD348108 00088206
	s_mov_b64 exec, s[36:37]                                   // 000000008D90: BEFE0124
	v_mov_b32_e32 v6, v75                                      // 000000008D94: 7E0C034B
	s_mov_b64 s[60:61], 0                                      // 000000008D98: BEBC0180
	v_readlane_b32 s82, v3, 22                                 // 000000008D9C: D2890052 00012D03
	s_and_b32 s82, s82, 0xffffff                               // 000000008DA4: 8652FF52 00FFFFFF
	s_cmp_lt_u32 s82, s66                                      // 000000008DAC: BF0A4252
	s_cselect_b32 s20, s36, s60                                // 000000008DB0: 85143C24
	v_readlane_b32 s82, v3, 23                                 // 000000008DB4: D2890052 00012F03
	s_and_b32 s82, s82, 0xffffff                               // 000000008DBC: 8652FF52 00FFFFFF
	s_cmp_lt_u32 s82, s66                                      // 000000008DC4: BF0A4252
	s_cselect_b32 s21, s36, s60                                // 000000008DC8: 85153C24
	s_mov_b64 exec, s[20:21]                                   // 000000008DCC: BEFE0114
	global_atomic_add_f32 v6, v127, s[8:9] offset:8            // 000000008DD0: DD348008 00087F06
	global_atomic_add_f32 v6, v131, s[8:9] offset:264          // 000000008DD8: DD348108 00088306
	s_mov_b64 exec, s[36:37]                                   // 000000008DE0: BEFE0124
	v_mov_b32_e32 v6, v76                                      // 000000008DE4: 7E0C034C
	s_mov_b64 s[60:61], 0                                      // 000000008DE8: BEBC0180
	v_readlane_b32 s82, v3, 24                                 // 000000008DEC: D2890052 00013103
	s_and_b32 s82, s82, 0xffffff                               // 000000008DF4: 8652FF52 00FFFFFF
	s_cmp_lt_u32 s82, s66                                      // 000000008DFC: BF0A4252
	s_cselect_b32 s20, s36, s60                                // 000000008E00: 85143C24
	v_readlane_b32 s82, v3, 25                                 // 000000008E04: D2890052 00013303
	s_and_b32 s82, s82, 0xffffff                               // 000000008E0C: 8652FF52 00FFFFFF
	s_cmp_lt_u32 s82, s66                                      // 000000008E14: BF0A4252
	s_cselect_b32 s21, s36, s60                                // 000000008E18: 85153C24
	s_mov_b64 exec, s[20:21]                                   // 000000008E1C: BEFE0114
	global_atomic_add_f32 v6, v134, s[8:9] offset:8            // 000000008E20: DD348008 00088606
	global_atomic_add_f32 v6, v138, s[8:9] offset:264          // 000000008E28: DD348108 00088A06
	s_mov_b64 exec, s[36:37]                                   // 000000008E30: BEFE0124
	v_mov_b32_e32 v6, v77                                      // 000000008E34: 7E0C034D
	s_mov_b64 s[60:61], 0                                      // 000000008E38: BEBC0180
	v_readlane_b32 s82, v3, 26                                 // 000000008E3C: D2890052 00013503
	s_and_b32 s82, s82, 0xffffff                               // 000000008E44: 8652FF52 00FFFFFF
	s_cmp_lt_u32 s82, s66                                      // 000000008E4C: BF0A4252
	s_cselect_b32 s20, s36, s60                                // 000000008E50: 85143C24
	v_readlane_b32 s82, v3, 27                                 // 000000008E54: D2890052 00013703
	s_and_b32 s82, s82, 0xffffff                               // 000000008E5C: 8652FF52 00FFFFFF
	s_cmp_lt_u32 s82, s66                                      // 000000008E64: BF0A4252
	s_cselect_b32 s21, s36, s60                                // 000000008E68: 85153C24
	s_mov_b64 exec, s[20:21]                                   // 000000008E6C: BEFE0114
	global_atomic_add_f32 v6, v135, s[8:9] offset:8            // 000000008E70: DD348008 00088706
	global_atomic_add_f32 v6, v139, s[8:9] offset:264          // 000000008E78: DD348108 00088B06
	s_mov_b64 exec, s[36:37]                                   // 000000008E80: BEFE0124
	v_mov_b32_e32 v6, v78                                      // 000000008E84: 7E0C034E
	s_mov_b64 s[60:61], 0                                      // 000000008E88: BEBC0180
	v_readlane_b32 s82, v3, 28                                 // 000000008E8C: D2890052 00013903
	s_and_b32 s82, s82, 0xffffff                               // 000000008E94: 8652FF52 00FFFFFF
	s_cmp_lt_u32 s82, s66                                      // 000000008E9C: BF0A4252
	s_cselect_b32 s20, s36, s60                                // 000000008EA0: 85143C24
	v_readlane_b32 s82, v3, 29                                 // 000000008EA4: D2890052 00013B03
	s_and_b32 s82, s82, 0xffffff                               // 000000008EAC: 8652FF52 00FFFFFF
	s_cmp_lt_u32 s82, s66                                      // 000000008EB4: BF0A4252
	s_cselect_b32 s21, s36, s60                                // 000000008EB8: 85153C24
	s_mov_b64 exec, s[20:21]                                   // 000000008EBC: BEFE0114
	global_atomic_add_f32 v6, v142, s[8:9] offset:8            // 000000008EC0: DD348008 00088E06
	global_atomic_add_f32 v6, v146, s[8:9] offset:264          // 000000008EC8: DD348108 00089206
	s_mov_b64 exec, s[36:37]                                   // 000000008ED0: BEFE0124
	v_mov_b32_e32 v6, v79                                      // 000000008ED4: 7E0C034F
	s_mov_b64 s[60:61], 0                                      // 000000008ED8: BEBC0180
	v_readlane_b32 s82, v3, 30                                 // 000000008EDC: D2890052 00013D03
	s_and_b32 s82, s82, 0xffffff                               // 000000008EE4: 8652FF52 00FFFFFF
	s_cmp_lt_u32 s82, s66                                      // 000000008EEC: BF0A4252
	s_cselect_b32 s20, s36, s60                                // 000000008EF0: 85143C24
	v_readlane_b32 s82, v3, 31                                 // 000000008EF4: D2890052 00013F03
	s_and_b32 s82, s82, 0xffffff                               // 000000008EFC: 8652FF52 00FFFFFF
	s_cmp_lt_u32 s82, s66                                      // 000000008F04: BF0A4252
	s_cselect_b32 s21, s36, s60                                // 000000008F08: 85153C24
	s_mov_b64 exec, s[20:21]                                   // 000000008F0C: BEFE0114
	global_atomic_add_f32 v6, v143, s[8:9] offset:8            // 000000008F10: DD348008 00088F06
	global_atomic_add_f32 v6, v147, s[8:9] offset:264          // 000000008F18: DD348108 00089306
	s_mov_b64 exec, s[36:37]                                   // 000000008F20: BEFE0124
	v_mov_b32_e32 v6, v80                                      // 000000008F24: 7E0C0350
	s_mov_b64 s[60:61], 0                                      // 000000008F28: BEBC0180
	v_readlane_b32 s82, v3, 32                                 // 000000008F2C: D2890052 00014103
	s_and_b32 s82, s82, 0xffffff                               // 000000008F34: 8652FF52 00FFFFFF
	s_cmp_lt_u32 s82, s66                                      // 000000008F3C: BF0A4252
	s_cselect_b32 s20, s36, s60                                // 000000008F40: 85143C24
	v_readlane_b32 s82, v3, 33                                 // 000000008F44: D2890052 00014303
	s_and_b32 s82, s82, 0xffffff                               // 000000008F4C: 8652FF52 00FFFFFF
	s_cmp_lt_u32 s82, s66                                      // 000000008F54: BF0A4252
	s_cselect_b32 s21, s36, s60                                // 000000008F58: 85153C24
	s_mov_b64 exec, s[20:21]                                   // 000000008F5C: BEFE0114
	global_atomic_add_f32 v6, v150, s[8:9] offset:8            // 000000008F60: DD348008 00089606
	global_atomic_add_f32 v6, v154, s[8:9] offset:264          // 000000008F68: DD348108 00089A06
	s_mov_b64 exec, s[36:37]                                   // 000000008F70: BEFE0124
	v_mov_b32_e32 v6, v81                                      // 000000008F74: 7E0C0351
	s_mov_b64 s[60:61], 0                                      // 000000008F78: BEBC0180
	v_readlane_b32 s82, v3, 34                                 // 000000008F7C: D2890052 00014503
	s_and_b32 s82, s82, 0xffffff                               // 000000008F84: 8652FF52 00FFFFFF
	s_cmp_lt_u32 s82, s66                                      // 000000008F8C: BF0A4252
	s_cselect_b32 s20, s36, s60                                // 000000008F90: 85143C24
	v_readlane_b32 s82, v3, 35                                 // 000000008F94: D2890052 00014703
	s_and_b32 s82, s82, 0xffffff                               // 000000008F9C: 8652FF52 00FFFFFF
	s_cmp_lt_u32 s82, s66                                      // 000000008FA4: BF0A4252
	s_cselect_b32 s21, s36, s60                                // 000000008FA8: 85153C24
	s_mov_b64 exec, s[20:21]                                   // 000000008FAC: BEFE0114
	global_atomic_add_f32 v6, v151, s[8:9] offset:8            // 000000008FB0: DD348008 00089706
	global_atomic_add_f32 v6, v155, s[8:9] offset:264          // 000000008FB8: DD348108 00089B06
	s_mov_b64 exec, s[36:37]                                   // 000000008FC0: BEFE0124
	ds_write_b64 v20, v[156:157]                               // 000000008FC4: D89A0000 00009C14
	ds_write_b64 v20, v[160:161] offset:4352                   // 000000008FCC: D89A1100 0000A014
	ds_write_b64 v20, v[164:165] offset:8704                   // 000000008FD4: D89A2200 0000A414
	ds_write_b64 v20, v[168:169] offset:13056                  // 000000008FDC: D89A3300 0000A814
	ds_write_b64 v20, v[172:173] offset:17408                  // 000000008FE4: D89A4400 0000AC14
	ds_write_b64 v20, v[176:177] offset:21760                  // 000000008FEC: D89A5500 0000B014
	ds_write_b64 v20, v[180:181] offset:26112                  // 000000008FF4: D89A6600 0000B414
	ds_write_b64 v20, v[184:185] offset:30464                  // 000000008FFC: D89A7700 0000B814
	ds_write_b64 v20, v[188:189] offset:34816                  // 000000009004: D89A8800 0000BC14
	ds_write_b64 v20, v[192:193] offset:2176                   // 00000000900C: D89A0880 0000C014
	ds_write_b64 v20, v[196:197] offset:6528                   // 000000009014: D89A1980 0000C414
	ds_write_b64 v20, v[200:201] offset:10880                  // 00000000901C: D89A2A80 0000C814
	ds_write_b64 v20, v[204:205] offset:15232                  // 000000009024: D89A3B80 0000CC14
	ds_write_b64 v20, v[208:209] offset:19584                  // 00000000902C: D89A4C80 0000D014
	ds_write_b64 v20, v[212:213] offset:23936                  // 000000009034: D89A5D80 0000D414
	ds_write_b64 v20, v[216:217] offset:28288                  // 00000000903C: D89A6E80 0000D814
	ds_write_b64 v20, v[220:221] offset:32640                  // 000000009044: D89A7F80 0000DC14
	ds_write_b64 v20, v[224:225] offset:36992                  // 00000000904C: D89A9080 0000E014
	s_waitcnt lgkmcnt(0)                                       // 000000009054: BF8CC07F
	s_barrier                                                  // 000000009058: BF8A0000
	ds_read_b32 v156, v21                                      // 00000000905C: D86C0000 9C000015
	ds_read_b32 v157, v21 offset:64                            // 000000009064: D86C0040 9D000015
	ds_read_b32 v160, v21 offset:2176                          // 00000000906C: D86C0880 A0000015
	ds_read_b32 v161, v21 offset:2240                          // 000000009074: D86C08C0 A1000015
	ds_read_b32 v164, v21 offset:4352                          // 00000000907C: D86C1100 A4000015
	ds_read_b32 v165, v21 offset:4416                          // 000000009084: D86C1140 A5000015
	ds_read_b32 v168, v21 offset:6528                          // 00000000908C: D86C1980 A8000015
	ds_read_b32 v169, v21 offset:6592                          // 000000009094: D86C19C0 A9000015
	ds_read_b32 v172, v21 offset:8704                          // 00000000909C: D86C2200 AC000015
	ds_read_b32 v173, v21 offset:8768                          // 0000000090A4: D86C2240 AD000015
	ds_read_b32 v176, v21 offset:10880                         // 0000000090AC: D86C2A80 B0000015
	ds_read_b32 v177, v21 offset:10944                         // 0000000090B4: D86C2AC0 B1000015
	ds_read_b32 v180, v21 offset:13056                         // 0000000090BC: D86C3300 B4000015
	ds_read_b32 v181, v21 offset:13120                         // 0000000090C4: D86C3340 B5000015
	ds_read_b32 v184, v21 offset:15232                         // 0000000090CC: D86C3B80 B8000015
	ds_read_b32 v185, v21 offset:15296                         // 0000000090D4: D86C3BC0 B9000015
	ds_read_b32 v188, v21 offset:17408                         // 0000000090DC: D86C4400 BC000015
	ds_read_b32 v189, v21 offset:17472                         // 0000000090E4: D86C4440 BD000015
	ds_read_b32 v192, v21 offset:19584                         // 0000000090EC: D86C4C80 C0000015
	ds_read_b32 v193, v21 offset:19648                         // 0000000090F4: D86C4CC0 C1000015
	ds_read_b32 v196, v21 offset:21760                         // 0000000090FC: D86C5500 C4000015
	ds_read_b32 v197, v21 offset:21824                         // 000000009104: D86C5540 C5000015
	ds_read_b32 v200, v21 offset:23936                         // 00000000910C: D86C5D80 C8000015
	ds_read_b32 v201, v21 offset:24000                         // 000000009114: D86C5DC0 C9000015
	ds_read_b32 v204, v21 offset:26112                         // 00000000911C: D86C6600 CC000015
	ds_read_b32 v205, v21 offset:26176                         // 000000009124: D86C6640 CD000015
	ds_read_b32 v208, v21 offset:28288                         // 00000000912C: D86C6E80 D0000015
	ds_read_b32 v209, v21 offset:28352                         // 000000009134: D86C6EC0 D1000015
	ds_read_b32 v212, v21 offset:30464                         // 00000000913C: D86C7700 D4000015
	ds_read_b32 v213, v21 offset:30528                         // 000000009144: D86C7740 D5000015
	ds_read_b32 v216, v21 offset:32640                         // 00000000914C: D86C7F80 D8000015
	ds_read_b32 v217, v21 offset:32704                         // 000000009154: D86C7FC0 D9000015
	ds_read_b32 v220, v21 offset:34816                         // 00000000915C: D86C8800 DC000015
	ds_read_b32 v221, v21 offset:34880                         // 000000009164: D86C8840 DD000015
	ds_read_b32 v224, v21 offset:36992                         // 00000000916C: D86C9080 E0000015
	ds_read_b32 v225, v21 offset:37056                         // 000000009174: D86C90C0 E1000015
	s_mul_i32 s60, s65, 4                                      // 00000000917C: 923C8441
	s_add_u32 s8, s60, s8                                      // 000000009180: 8008083C
	s_addc_u32 s9, 0, s9                                       // 000000009184: 82090980
	s_waitcnt lgkmcnt(0)                                       // 000000009188: BF8CC07F
	v_mov_b32_e32 v7, 0                                        // 00000000918C: 7E0E0280
	s_mov_b64 exec, s[36:37]                                   // 000000009190: BEFE0124
	v_mov_b32_e32 v6, v64                                      // 000000009194: 7E0C0340
	s_mov_b64 s[60:61], 0                                      // 000000009198: BEBC0180
	v_readlane_b32 s82, v3, 0                                  // 00000000919C: D2890052 00010103
	s_and_b32 s82, s82, 0xffffff                               // 0000000091A4: 8652FF52 00FFFFFF
	s_cmp_lt_u32 s82, s66                                      // 0000000091AC: BF0A4252
	s_cselect_b32 s20, s36, s60                                // 0000000091B0: 85143C24
	v_readlane_b32 s82, v3, 1                                  // 0000000091B4: D2890052 00010303
	s_and_b32 s82, s82, 0xffffff                               // 0000000091BC: 8652FF52 00FFFFFF
	s_cmp_lt_u32 s82, s66                                      // 0000000091C4: BF0A4252
	s_cselect_b32 s21, s36, s60                                // 0000000091C8: 85153C24
	s_mov_b64 exec, s[20:21]                                   // 0000000091CC: BEFE0114
	global_atomic_add_f32 v6, v156, s[8:9]                     // 0000000091D0: DD348000 00089C06
	global_atomic_add_f32 v6, v160, s[8:9] offset:256          // 0000000091D8: DD348100 0008A006
	s_mov_b64 exec, s[36:37]                                   // 0000000091E0: BEFE0124
	v_mov_b32_e32 v6, v65                                      // 0000000091E4: 7E0C0341
	s_mov_b64 s[60:61], 0                                      // 0000000091E8: BEBC0180
	v_readlane_b32 s82, v3, 2                                  // 0000000091EC: D2890052 00010503
	s_and_b32 s82, s82, 0xffffff                               // 0000000091F4: 8652FF52 00FFFFFF
	s_cmp_lt_u32 s82, s66                                      // 0000000091FC: BF0A4252
	s_cselect_b32 s20, s36, s60                                // 000000009200: 85143C24
	v_readlane_b32 s82, v3, 3                                  // 000000009204: D2890052 00010703
	s_and_b32 s82, s82, 0xffffff                               // 00000000920C: 8652FF52 00FFFFFF
	s_cmp_lt_u32 s82, s66                                      // 000000009214: BF0A4252
	s_cselect_b32 s21, s36, s60                                // 000000009218: 85153C24
	s_mov_b64 exec, s[20:21]                                   // 00000000921C: BEFE0114
	global_atomic_add_f32 v6, v157, s[8:9]                     // 000000009220: DD348000 00089D06
	global_atomic_add_f32 v6, v161, s[8:9] offset:256          // 000000009228: DD348100 0008A106
	s_mov_b64 exec, s[36:37]                                   // 000000009230: BEFE0124
	v_mov_b32_e32 v6, v66                                      // 000000009234: 7E0C0342
	s_mov_b64 s[60:61], 0                                      // 000000009238: BEBC0180
	v_readlane_b32 s82, v3, 4                                  // 00000000923C: D2890052 00010903
	s_and_b32 s82, s82, 0xffffff                               // 000000009244: 8652FF52 00FFFFFF
	s_cmp_lt_u32 s82, s66                                      // 00000000924C: BF0A4252
	s_cselect_b32 s20, s36, s60                                // 000000009250: 85143C24
	v_readlane_b32 s82, v3, 5                                  // 000000009254: D2890052 00010B03
	s_and_b32 s82, s82, 0xffffff                               // 00000000925C: 8652FF52 00FFFFFF
	s_cmp_lt_u32 s82, s66                                      // 000000009264: BF0A4252
	s_cselect_b32 s21, s36, s60                                // 000000009268: 85153C24
	s_mov_b64 exec, s[20:21]                                   // 00000000926C: BEFE0114
	global_atomic_add_f32 v6, v164, s[8:9]                     // 000000009270: DD348000 0008A406
	global_atomic_add_f32 v6, v168, s[8:9] offset:256          // 000000009278: DD348100 0008A806
	s_mov_b64 exec, s[36:37]                                   // 000000009280: BEFE0124
	v_mov_b32_e32 v6, v67                                      // 000000009284: 7E0C0343
	s_mov_b64 s[60:61], 0                                      // 000000009288: BEBC0180
	v_readlane_b32 s82, v3, 6                                  // 00000000928C: D2890052 00010D03
	s_and_b32 s82, s82, 0xffffff                               // 000000009294: 8652FF52 00FFFFFF
	s_cmp_lt_u32 s82, s66                                      // 00000000929C: BF0A4252
	s_cselect_b32 s20, s36, s60                                // 0000000092A0: 85143C24
	v_readlane_b32 s82, v3, 7                                  // 0000000092A4: D2890052 00010F03
	s_and_b32 s82, s82, 0xffffff                               // 0000000092AC: 8652FF52 00FFFFFF
	s_cmp_lt_u32 s82, s66                                      // 0000000092B4: BF0A4252
	s_cselect_b32 s21, s36, s60                                // 0000000092B8: 85153C24
	s_mov_b64 exec, s[20:21]                                   // 0000000092BC: BEFE0114
	global_atomic_add_f32 v6, v165, s[8:9]                     // 0000000092C0: DD348000 0008A506
	global_atomic_add_f32 v6, v169, s[8:9] offset:256          // 0000000092C8: DD348100 0008A906
	s_mov_b64 exec, s[36:37]                                   // 0000000092D0: BEFE0124
	v_mov_b32_e32 v6, v68                                      // 0000000092D4: 7E0C0344
	s_mov_b64 s[60:61], 0                                      // 0000000092D8: BEBC0180
	v_readlane_b32 s82, v3, 8                                  // 0000000092DC: D2890052 00011103
	s_and_b32 s82, s82, 0xffffff                               // 0000000092E4: 8652FF52 00FFFFFF
	s_cmp_lt_u32 s82, s66                                      // 0000000092EC: BF0A4252
	s_cselect_b32 s20, s36, s60                                // 0000000092F0: 85143C24
	v_readlane_b32 s82, v3, 9                                  // 0000000092F4: D2890052 00011303
	s_and_b32 s82, s82, 0xffffff                               // 0000000092FC: 8652FF52 00FFFFFF
	s_cmp_lt_u32 s82, s66                                      // 000000009304: BF0A4252
	s_cselect_b32 s21, s36, s60                                // 000000009308: 85153C24
	s_mov_b64 exec, s[20:21]                                   // 00000000930C: BEFE0114
	global_atomic_add_f32 v6, v172, s[8:9]                     // 000000009310: DD348000 0008AC06
	global_atomic_add_f32 v6, v176, s[8:9] offset:256          // 000000009318: DD348100 0008B006
	s_mov_b64 exec, s[36:37]                                   // 000000009320: BEFE0124
	v_mov_b32_e32 v6, v69                                      // 000000009324: 7E0C0345
	s_mov_b64 s[60:61], 0                                      // 000000009328: BEBC0180
	v_readlane_b32 s82, v3, 10                                 // 00000000932C: D2890052 00011503
	s_and_b32 s82, s82, 0xffffff                               // 000000009334: 8652FF52 00FFFFFF
	s_cmp_lt_u32 s82, s66                                      // 00000000933C: BF0A4252
	s_cselect_b32 s20, s36, s60                                // 000000009340: 85143C24
	v_readlane_b32 s82, v3, 11                                 // 000000009344: D2890052 00011703
	s_and_b32 s82, s82, 0xffffff                               // 00000000934C: 8652FF52 00FFFFFF
	s_cmp_lt_u32 s82, s66                                      // 000000009354: BF0A4252
	s_cselect_b32 s21, s36, s60                                // 000000009358: 85153C24
	s_mov_b64 exec, s[20:21]                                   // 00000000935C: BEFE0114
	global_atomic_add_f32 v6, v173, s[8:9]                     // 000000009360: DD348000 0008AD06
	global_atomic_add_f32 v6, v177, s[8:9] offset:256          // 000000009368: DD348100 0008B106
	s_mov_b64 exec, s[36:37]                                   // 000000009370: BEFE0124
	v_mov_b32_e32 v6, v70                                      // 000000009374: 7E0C0346
	s_mov_b64 s[60:61], 0                                      // 000000009378: BEBC0180
	v_readlane_b32 s82, v3, 12                                 // 00000000937C: D2890052 00011903
	s_and_b32 s82, s82, 0xffffff                               // 000000009384: 8652FF52 00FFFFFF
	s_cmp_lt_u32 s82, s66                                      // 00000000938C: BF0A4252
	s_cselect_b32 s20, s36, s60                                // 000000009390: 85143C24
	v_readlane_b32 s82, v3, 13                                 // 000000009394: D2890052 00011B03
	s_and_b32 s82, s82, 0xffffff                               // 00000000939C: 8652FF52 00FFFFFF
	s_cmp_lt_u32 s82, s66                                      // 0000000093A4: BF0A4252
	s_cselect_b32 s21, s36, s60                                // 0000000093A8: 85153C24
	s_mov_b64 exec, s[20:21]                                   // 0000000093AC: BEFE0114
	global_atomic_add_f32 v6, v180, s[8:9]                     // 0000000093B0: DD348000 0008B406
	global_atomic_add_f32 v6, v184, s[8:9] offset:256          // 0000000093B8: DD348100 0008B806
	s_mov_b64 exec, s[36:37]                                   // 0000000093C0: BEFE0124
	v_mov_b32_e32 v6, v71                                      // 0000000093C4: 7E0C0347
	s_mov_b64 s[60:61], 0                                      // 0000000093C8: BEBC0180
	v_readlane_b32 s82, v3, 14                                 // 0000000093CC: D2890052 00011D03
	s_and_b32 s82, s82, 0xffffff                               // 0000000093D4: 8652FF52 00FFFFFF
	s_cmp_lt_u32 s82, s66                                      // 0000000093DC: BF0A4252
	s_cselect_b32 s20, s36, s60                                // 0000000093E0: 85143C24
	v_readlane_b32 s82, v3, 15                                 // 0000000093E4: D2890052 00011F03
	s_and_b32 s82, s82, 0xffffff                               // 0000000093EC: 8652FF52 00FFFFFF
	s_cmp_lt_u32 s82, s66                                      // 0000000093F4: BF0A4252
	s_cselect_b32 s21, s36, s60                                // 0000000093F8: 85153C24
	s_mov_b64 exec, s[20:21]                                   // 0000000093FC: BEFE0114
	global_atomic_add_f32 v6, v181, s[8:9]                     // 000000009400: DD348000 0008B506
	global_atomic_add_f32 v6, v185, s[8:9] offset:256          // 000000009408: DD348100 0008B906
	s_mov_b64 exec, s[36:37]                                   // 000000009410: BEFE0124
	v_mov_b32_e32 v6, v72                                      // 000000009414: 7E0C0348
	s_mov_b64 s[60:61], 0                                      // 000000009418: BEBC0180
	v_readlane_b32 s82, v3, 16                                 // 00000000941C: D2890052 00012103
	s_and_b32 s82, s82, 0xffffff                               // 000000009424: 8652FF52 00FFFFFF
	s_cmp_lt_u32 s82, s66                                      // 00000000942C: BF0A4252
	s_cselect_b32 s20, s36, s60                                // 000000009430: 85143C24
	v_readlane_b32 s82, v3, 17                                 // 000000009434: D2890052 00012303
	s_and_b32 s82, s82, 0xffffff                               // 00000000943C: 8652FF52 00FFFFFF
	s_cmp_lt_u32 s82, s66                                      // 000000009444: BF0A4252
	s_cselect_b32 s21, s36, s60                                // 000000009448: 85153C24
	s_mov_b64 exec, s[20:21]                                   // 00000000944C: BEFE0114
	global_atomic_add_f32 v6, v188, s[8:9]                     // 000000009450: DD348000 0008BC06
	global_atomic_add_f32 v6, v192, s[8:9] offset:256          // 000000009458: DD348100 0008C006
	s_mov_b64 exec, s[36:37]                                   // 000000009460: BEFE0124
	v_mov_b32_e32 v6, v73                                      // 000000009464: 7E0C0349
	s_mov_b64 s[60:61], 0                                      // 000000009468: BEBC0180
	v_readlane_b32 s82, v3, 18                                 // 00000000946C: D2890052 00012503
	s_and_b32 s82, s82, 0xffffff                               // 000000009474: 8652FF52 00FFFFFF
	s_cmp_lt_u32 s82, s66                                      // 00000000947C: BF0A4252
	s_cselect_b32 s20, s36, s60                                // 000000009480: 85143C24
	v_readlane_b32 s82, v3, 19                                 // 000000009484: D2890052 00012703
	s_and_b32 s82, s82, 0xffffff                               // 00000000948C: 8652FF52 00FFFFFF
	s_cmp_lt_u32 s82, s66                                      // 000000009494: BF0A4252
	s_cselect_b32 s21, s36, s60                                // 000000009498: 85153C24
	s_mov_b64 exec, s[20:21]                                   // 00000000949C: BEFE0114
	global_atomic_add_f32 v6, v189, s[8:9]                     // 0000000094A0: DD348000 0008BD06
	global_atomic_add_f32 v6, v193, s[8:9] offset:256          // 0000000094A8: DD348100 0008C106
	s_mov_b64 exec, s[36:37]                                   // 0000000094B0: BEFE0124
	v_mov_b32_e32 v6, v74                                      // 0000000094B4: 7E0C034A
	s_mov_b64 s[60:61], 0                                      // 0000000094B8: BEBC0180
	v_readlane_b32 s82, v3, 20                                 // 0000000094BC: D2890052 00012903
	s_and_b32 s82, s82, 0xffffff                               // 0000000094C4: 8652FF52 00FFFFFF
	s_cmp_lt_u32 s82, s66                                      // 0000000094CC: BF0A4252
	s_cselect_b32 s20, s36, s60                                // 0000000094D0: 85143C24
	v_readlane_b32 s82, v3, 21                                 // 0000000094D4: D2890052 00012B03
	s_and_b32 s82, s82, 0xffffff                               // 0000000094DC: 8652FF52 00FFFFFF
	s_cmp_lt_u32 s82, s66                                      // 0000000094E4: BF0A4252
	s_cselect_b32 s21, s36, s60                                // 0000000094E8: 85153C24
	s_mov_b64 exec, s[20:21]                                   // 0000000094EC: BEFE0114
	global_atomic_add_f32 v6, v196, s[8:9]                     // 0000000094F0: DD348000 0008C406
	global_atomic_add_f32 v6, v200, s[8:9] offset:256          // 0000000094F8: DD348100 0008C806
	s_mov_b64 exec, s[36:37]                                   // 000000009500: BEFE0124
	v_mov_b32_e32 v6, v75                                      // 000000009504: 7E0C034B
	s_mov_b64 s[60:61], 0                                      // 000000009508: BEBC0180
	v_readlane_b32 s82, v3, 22                                 // 00000000950C: D2890052 00012D03
	s_and_b32 s82, s82, 0xffffff                               // 000000009514: 8652FF52 00FFFFFF
	s_cmp_lt_u32 s82, s66                                      // 00000000951C: BF0A4252
	s_cselect_b32 s20, s36, s60                                // 000000009520: 85143C24
	v_readlane_b32 s82, v3, 23                                 // 000000009524: D2890052 00012F03
	s_and_b32 s82, s82, 0xffffff                               // 00000000952C: 8652FF52 00FFFFFF
	s_cmp_lt_u32 s82, s66                                      // 000000009534: BF0A4252
	s_cselect_b32 s21, s36, s60                                // 000000009538: 85153C24
	s_mov_b64 exec, s[20:21]                                   // 00000000953C: BEFE0114
	global_atomic_add_f32 v6, v197, s[8:9]                     // 000000009540: DD348000 0008C506
	global_atomic_add_f32 v6, v201, s[8:9] offset:256          // 000000009548: DD348100 0008C906
	s_mov_b64 exec, s[36:37]                                   // 000000009550: BEFE0124
	v_mov_b32_e32 v6, v76                                      // 000000009554: 7E0C034C
	s_mov_b64 s[60:61], 0                                      // 000000009558: BEBC0180
	v_readlane_b32 s82, v3, 24                                 // 00000000955C: D2890052 00013103
	s_and_b32 s82, s82, 0xffffff                               // 000000009564: 8652FF52 00FFFFFF
	s_cmp_lt_u32 s82, s66                                      // 00000000956C: BF0A4252
	s_cselect_b32 s20, s36, s60                                // 000000009570: 85143C24
	v_readlane_b32 s82, v3, 25                                 // 000000009574: D2890052 00013303
	s_and_b32 s82, s82, 0xffffff                               // 00000000957C: 8652FF52 00FFFFFF
	s_cmp_lt_u32 s82, s66                                      // 000000009584: BF0A4252
	s_cselect_b32 s21, s36, s60                                // 000000009588: 85153C24
	s_mov_b64 exec, s[20:21]                                   // 00000000958C: BEFE0114
	global_atomic_add_f32 v6, v204, s[8:9]                     // 000000009590: DD348000 0008CC06
	global_atomic_add_f32 v6, v208, s[8:9] offset:256          // 000000009598: DD348100 0008D006
	s_mov_b64 exec, s[36:37]                                   // 0000000095A0: BEFE0124
	v_mov_b32_e32 v6, v77                                      // 0000000095A4: 7E0C034D
	s_mov_b64 s[60:61], 0                                      // 0000000095A8: BEBC0180
	v_readlane_b32 s82, v3, 26                                 // 0000000095AC: D2890052 00013503
	s_and_b32 s82, s82, 0xffffff                               // 0000000095B4: 8652FF52 00FFFFFF
	s_cmp_lt_u32 s82, s66                                      // 0000000095BC: BF0A4252
	s_cselect_b32 s20, s36, s60                                // 0000000095C0: 85143C24
	v_readlane_b32 s82, v3, 27                                 // 0000000095C4: D2890052 00013703
	s_and_b32 s82, s82, 0xffffff                               // 0000000095CC: 8652FF52 00FFFFFF
	s_cmp_lt_u32 s82, s66                                      // 0000000095D4: BF0A4252
	s_cselect_b32 s21, s36, s60                                // 0000000095D8: 85153C24
	s_mov_b64 exec, s[20:21]                                   // 0000000095DC: BEFE0114
	global_atomic_add_f32 v6, v205, s[8:9]                     // 0000000095E0: DD348000 0008CD06
	global_atomic_add_f32 v6, v209, s[8:9] offset:256          // 0000000095E8: DD348100 0008D106
	s_mov_b64 exec, s[36:37]                                   // 0000000095F0: BEFE0124
	v_mov_b32_e32 v6, v78                                      // 0000000095F4: 7E0C034E
	s_mov_b64 s[60:61], 0                                      // 0000000095F8: BEBC0180
	v_readlane_b32 s82, v3, 28                                 // 0000000095FC: D2890052 00013903
	s_and_b32 s82, s82, 0xffffff                               // 000000009604: 8652FF52 00FFFFFF
	s_cmp_lt_u32 s82, s66                                      // 00000000960C: BF0A4252
	s_cselect_b32 s20, s36, s60                                // 000000009610: 85143C24
	v_readlane_b32 s82, v3, 29                                 // 000000009614: D2890052 00013B03
	s_and_b32 s82, s82, 0xffffff                               // 00000000961C: 8652FF52 00FFFFFF
	s_cmp_lt_u32 s82, s66                                      // 000000009624: BF0A4252
	s_cselect_b32 s21, s36, s60                                // 000000009628: 85153C24
	s_mov_b64 exec, s[20:21]                                   // 00000000962C: BEFE0114
	global_atomic_add_f32 v6, v212, s[8:9]                     // 000000009630: DD348000 0008D406
	global_atomic_add_f32 v6, v216, s[8:9] offset:256          // 000000009638: DD348100 0008D806
	s_mov_b64 exec, s[36:37]                                   // 000000009640: BEFE0124
	v_mov_b32_e32 v6, v79                                      // 000000009644: 7E0C034F
	s_mov_b64 s[60:61], 0                                      // 000000009648: BEBC0180
	v_readlane_b32 s82, v3, 30                                 // 00000000964C: D2890052 00013D03
	s_and_b32 s82, s82, 0xffffff                               // 000000009654: 8652FF52 00FFFFFF
	s_cmp_lt_u32 s82, s66                                      // 00000000965C: BF0A4252
	s_cselect_b32 s20, s36, s60                                // 000000009660: 85143C24
	v_readlane_b32 s82, v3, 31                                 // 000000009664: D2890052 00013F03
	s_and_b32 s82, s82, 0xffffff                               // 00000000966C: 8652FF52 00FFFFFF
	s_cmp_lt_u32 s82, s66                                      // 000000009674: BF0A4252
	s_cselect_b32 s21, s36, s60                                // 000000009678: 85153C24
	s_mov_b64 exec, s[20:21]                                   // 00000000967C: BEFE0114
	global_atomic_add_f32 v6, v213, s[8:9]                     // 000000009680: DD348000 0008D506
	global_atomic_add_f32 v6, v217, s[8:9] offset:256          // 000000009688: DD348100 0008D906
	s_mov_b64 exec, s[36:37]                                   // 000000009690: BEFE0124
	v_mov_b32_e32 v6, v80                                      // 000000009694: 7E0C0350
	s_mov_b64 s[60:61], 0                                      // 000000009698: BEBC0180
	v_readlane_b32 s82, v3, 32                                 // 00000000969C: D2890052 00014103
	s_and_b32 s82, s82, 0xffffff                               // 0000000096A4: 8652FF52 00FFFFFF
	s_cmp_lt_u32 s82, s66                                      // 0000000096AC: BF0A4252
	s_cselect_b32 s20, s36, s60                                // 0000000096B0: 85143C24
	v_readlane_b32 s82, v3, 33                                 // 0000000096B4: D2890052 00014303
	s_and_b32 s82, s82, 0xffffff                               // 0000000096BC: 8652FF52 00FFFFFF
	s_cmp_lt_u32 s82, s66                                      // 0000000096C4: BF0A4252
	s_cselect_b32 s21, s36, s60                                // 0000000096C8: 85153C24
	s_mov_b64 exec, s[20:21]                                   // 0000000096CC: BEFE0114
	global_atomic_add_f32 v6, v220, s[8:9]                     // 0000000096D0: DD348000 0008DC06
	global_atomic_add_f32 v6, v224, s[8:9] offset:256          // 0000000096D8: DD348100 0008E006
	s_mov_b64 exec, s[36:37]                                   // 0000000096E0: BEFE0124
	v_mov_b32_e32 v6, v81                                      // 0000000096E4: 7E0C0351
	s_mov_b64 s[60:61], 0                                      // 0000000096E8: BEBC0180
	v_readlane_b32 s82, v3, 34                                 // 0000000096EC: D2890052 00014503
	s_and_b32 s82, s82, 0xffffff                               // 0000000096F4: 8652FF52 00FFFFFF
	s_cmp_lt_u32 s82, s66                                      // 0000000096FC: BF0A4252
	s_cselect_b32 s20, s36, s60                                // 000000009700: 85143C24
	v_readlane_b32 s82, v3, 35                                 // 000000009704: D2890052 00014703
	s_and_b32 s82, s82, 0xffffff                               // 00000000970C: 8652FF52 00FFFFFF
	s_cmp_lt_u32 s82, s66                                      // 000000009714: BF0A4252
	s_cselect_b32 s21, s36, s60                                // 000000009718: 85153C24
	s_mov_b64 exec, s[20:21]                                   // 00000000971C: BEFE0114
	global_atomic_add_f32 v6, v221, s[8:9]                     // 000000009720: DD348000 0008DD06
	global_atomic_add_f32 v6, v225, s[8:9] offset:256          // 000000009728: DD348100 0008E106
	s_mov_b64 exec, s[36:37]                                   // 000000009730: BEFE0124
	ds_write_b64 v20, v[158:159]                               // 000000009734: D89A0000 00009E14
	ds_write_b64 v20, v[162:163] offset:4352                   // 00000000973C: D89A1100 0000A214
	ds_write_b64 v20, v[166:167] offset:8704                   // 000000009744: D89A2200 0000A614
	ds_write_b64 v20, v[170:171] offset:13056                  // 00000000974C: D89A3300 0000AA14
	ds_write_b64 v20, v[174:175] offset:17408                  // 000000009754: D89A4400 0000AE14
	ds_write_b64 v20, v[178:179] offset:21760                  // 00000000975C: D89A5500 0000B214
	ds_write_b64 v20, v[182:183] offset:26112                  // 000000009764: D89A6600 0000B614
	ds_write_b64 v20, v[186:187] offset:30464                  // 00000000976C: D89A7700 0000BA14
	ds_write_b64 v20, v[190:191] offset:34816                  // 000000009774: D89A8800 0000BE14
	ds_write_b64 v20, v[194:195] offset:2176                   // 00000000977C: D89A0880 0000C214
	ds_write_b64 v20, v[198:199] offset:6528                   // 000000009784: D89A1980 0000C614
	ds_write_b64 v20, v[202:203] offset:10880                  // 00000000978C: D89A2A80 0000CA14
	ds_write_b64 v20, v[206:207] offset:15232                  // 000000009794: D89A3B80 0000CE14
	ds_write_b64 v20, v[210:211] offset:19584                  // 00000000979C: D89A4C80 0000D214
	ds_write_b64 v20, v[214:215] offset:23936                  // 0000000097A4: D89A5D80 0000D614
	ds_write_b64 v20, v[218:219] offset:28288                  // 0000000097AC: D89A6E80 0000DA14
	ds_write_b64 v20, v[222:223] offset:32640                  // 0000000097B4: D89A7F80 0000DE14
	ds_write_b64 v20, v[226:227] offset:36992                  // 0000000097BC: D89A9080 0000E214
	s_waitcnt lgkmcnt(0)                                       // 0000000097C4: BF8CC07F
	s_barrier                                                  // 0000000097C8: BF8A0000
	ds_read_b32 v158, v21                                      // 0000000097CC: D86C0000 9E000015
	ds_read_b32 v159, v21 offset:64                            // 0000000097D4: D86C0040 9F000015
	ds_read_b32 v162, v21 offset:2176                          // 0000000097DC: D86C0880 A2000015
	ds_read_b32 v163, v21 offset:2240                          // 0000000097E4: D86C08C0 A3000015
	ds_read_b32 v166, v21 offset:4352                          // 0000000097EC: D86C1100 A6000015
	ds_read_b32 v167, v21 offset:4416                          // 0000000097F4: D86C1140 A7000015
	ds_read_b32 v170, v21 offset:6528                          // 0000000097FC: D86C1980 AA000015
	ds_read_b32 v171, v21 offset:6592                          // 000000009804: D86C19C0 AB000015
	ds_read_b32 v174, v21 offset:8704                          // 00000000980C: D86C2200 AE000015
	ds_read_b32 v175, v21 offset:8768                          // 000000009814: D86C2240 AF000015
	ds_read_b32 v178, v21 offset:10880                         // 00000000981C: D86C2A80 B2000015
	ds_read_b32 v179, v21 offset:10944                         // 000000009824: D86C2AC0 B3000015
	ds_read_b32 v182, v21 offset:13056                         // 00000000982C: D86C3300 B6000015
	ds_read_b32 v183, v21 offset:13120                         // 000000009834: D86C3340 B7000015
	ds_read_b32 v186, v21 offset:15232                         // 00000000983C: D86C3B80 BA000015
	ds_read_b32 v187, v21 offset:15296                         // 000000009844: D86C3BC0 BB000015
	ds_read_b32 v190, v21 offset:17408                         // 00000000984C: D86C4400 BE000015
	ds_read_b32 v191, v21 offset:17472                         // 000000009854: D86C4440 BF000015
	ds_read_b32 v194, v21 offset:19584                         // 00000000985C: D86C4C80 C2000015
	ds_read_b32 v195, v21 offset:19648                         // 000000009864: D86C4CC0 C3000015
	ds_read_b32 v198, v21 offset:21760                         // 00000000986C: D86C5500 C6000015
	ds_read_b32 v199, v21 offset:21824                         // 000000009874: D86C5540 C7000015
	ds_read_b32 v202, v21 offset:23936                         // 00000000987C: D86C5D80 CA000015
	ds_read_b32 v203, v21 offset:24000                         // 000000009884: D86C5DC0 CB000015
	ds_read_b32 v206, v21 offset:26112                         // 00000000988C: D86C6600 CE000015
	ds_read_b32 v207, v21 offset:26176                         // 000000009894: D86C6640 CF000015
	ds_read_b32 v210, v21 offset:28288                         // 00000000989C: D86C6E80 D2000015
	ds_read_b32 v211, v21 offset:28352                         // 0000000098A4: D86C6EC0 D3000015
	ds_read_b32 v214, v21 offset:30464                         // 0000000098AC: D86C7700 D6000015
	ds_read_b32 v215, v21 offset:30528                         // 0000000098B4: D86C7740 D7000015
	ds_read_b32 v218, v21 offset:32640                         // 0000000098BC: D86C7F80 DA000015
	ds_read_b32 v219, v21 offset:32704                         // 0000000098C4: D86C7FC0 DB000015
	ds_read_b32 v222, v21 offset:34816                         // 0000000098CC: D86C8800 DE000015
	ds_read_b32 v223, v21 offset:34880                         // 0000000098D4: D86C8840 DF000015
	ds_read_b32 v226, v21 offset:36992                         // 0000000098DC: D86C9080 E2000015
	ds_read_b32 v227, v21 offset:37056                         // 0000000098E4: D86C90C0 E3000015
	s_waitcnt lgkmcnt(0)                                       // 0000000098EC: BF8CC07F
	v_mov_b32_e32 v7, 0                                        // 0000000098F0: 7E0E0280
	s_mov_b64 exec, s[36:37]                                   // 0000000098F4: BEFE0124
	v_mov_b32_e32 v6, v64                                      // 0000000098F8: 7E0C0340
	s_mov_b64 s[60:61], 0                                      // 0000000098FC: BEBC0180
	v_readlane_b32 s82, v3, 0                                  // 000000009900: D2890052 00010103
	s_and_b32 s82, s82, 0xffffff                               // 000000009908: 8652FF52 00FFFFFF
	s_cmp_lt_u32 s82, s66                                      // 000000009910: BF0A4252
	s_cselect_b32 s20, s36, s60                                // 000000009914: 85143C24
	v_readlane_b32 s82, v3, 1                                  // 000000009918: D2890052 00010303
	s_and_b32 s82, s82, 0xffffff                               // 000000009920: 8652FF52 00FFFFFF
	s_cmp_lt_u32 s82, s66                                      // 000000009928: BF0A4252
	s_cselect_b32 s21, s36, s60                                // 00000000992C: 85153C24
	s_mov_b64 exec, s[20:21]                                   // 000000009930: BEFE0114
	global_atomic_add_f32 v6, v158, s[8:9] offset:8            // 000000009934: DD348008 00089E06
	global_atomic_add_f32 v6, v162, s[8:9] offset:264          // 00000000993C: DD348108 0008A206
	s_mov_b64 exec, s[36:37]                                   // 000000009944: BEFE0124
	v_mov_b32_e32 v6, v65                                      // 000000009948: 7E0C0341
	s_mov_b64 s[60:61], 0                                      // 00000000994C: BEBC0180
	v_readlane_b32 s82, v3, 2                                  // 000000009950: D2890052 00010503
	s_and_b32 s82, s82, 0xffffff                               // 000000009958: 8652FF52 00FFFFFF
	s_cmp_lt_u32 s82, s66                                      // 000000009960: BF0A4252
	s_cselect_b32 s20, s36, s60                                // 000000009964: 85143C24
	v_readlane_b32 s82, v3, 3                                  // 000000009968: D2890052 00010703
	s_and_b32 s82, s82, 0xffffff                               // 000000009970: 8652FF52 00FFFFFF
	s_cmp_lt_u32 s82, s66                                      // 000000009978: BF0A4252
	s_cselect_b32 s21, s36, s60                                // 00000000997C: 85153C24
	s_mov_b64 exec, s[20:21]                                   // 000000009980: BEFE0114
	global_atomic_add_f32 v6, v159, s[8:9] offset:8            // 000000009984: DD348008 00089F06
	global_atomic_add_f32 v6, v163, s[8:9] offset:264          // 00000000998C: DD348108 0008A306
	s_mov_b64 exec, s[36:37]                                   // 000000009994: BEFE0124
	v_mov_b32_e32 v6, v66                                      // 000000009998: 7E0C0342
	s_mov_b64 s[60:61], 0                                      // 00000000999C: BEBC0180
	v_readlane_b32 s82, v3, 4                                  // 0000000099A0: D2890052 00010903
	s_and_b32 s82, s82, 0xffffff                               // 0000000099A8: 8652FF52 00FFFFFF
	s_cmp_lt_u32 s82, s66                                      // 0000000099B0: BF0A4252
	s_cselect_b32 s20, s36, s60                                // 0000000099B4: 85143C24
	v_readlane_b32 s82, v3, 5                                  // 0000000099B8: D2890052 00010B03
	s_and_b32 s82, s82, 0xffffff                               // 0000000099C0: 8652FF52 00FFFFFF
	s_cmp_lt_u32 s82, s66                                      // 0000000099C8: BF0A4252
	s_cselect_b32 s21, s36, s60                                // 0000000099CC: 85153C24
	s_mov_b64 exec, s[20:21]                                   // 0000000099D0: BEFE0114
	global_atomic_add_f32 v6, v166, s[8:9] offset:8            // 0000000099D4: DD348008 0008A606
	global_atomic_add_f32 v6, v170, s[8:9] offset:264          // 0000000099DC: DD348108 0008AA06
	s_mov_b64 exec, s[36:37]                                   // 0000000099E4: BEFE0124
	v_mov_b32_e32 v6, v67                                      // 0000000099E8: 7E0C0343
	s_mov_b64 s[60:61], 0                                      // 0000000099EC: BEBC0180
	v_readlane_b32 s82, v3, 6                                  // 0000000099F0: D2890052 00010D03
	s_and_b32 s82, s82, 0xffffff                               // 0000000099F8: 8652FF52 00FFFFFF
	s_cmp_lt_u32 s82, s66                                      // 000000009A00: BF0A4252
	s_cselect_b32 s20, s36, s60                                // 000000009A04: 85143C24
	v_readlane_b32 s82, v3, 7                                  // 000000009A08: D2890052 00010F03
	s_and_b32 s82, s82, 0xffffff                               // 000000009A10: 8652FF52 00FFFFFF
	s_cmp_lt_u32 s82, s66                                      // 000000009A18: BF0A4252
	s_cselect_b32 s21, s36, s60                                // 000000009A1C: 85153C24
	s_mov_b64 exec, s[20:21]                                   // 000000009A20: BEFE0114
	global_atomic_add_f32 v6, v167, s[8:9] offset:8            // 000000009A24: DD348008 0008A706
	global_atomic_add_f32 v6, v171, s[8:9] offset:264          // 000000009A2C: DD348108 0008AB06
	s_mov_b64 exec, s[36:37]                                   // 000000009A34: BEFE0124
	v_mov_b32_e32 v6, v68                                      // 000000009A38: 7E0C0344
	s_mov_b64 s[60:61], 0                                      // 000000009A3C: BEBC0180
	v_readlane_b32 s82, v3, 8                                  // 000000009A40: D2890052 00011103
	s_and_b32 s82, s82, 0xffffff                               // 000000009A48: 8652FF52 00FFFFFF
	s_cmp_lt_u32 s82, s66                                      // 000000009A50: BF0A4252
	s_cselect_b32 s20, s36, s60                                // 000000009A54: 85143C24
	v_readlane_b32 s82, v3, 9                                  // 000000009A58: D2890052 00011303
	s_and_b32 s82, s82, 0xffffff                               // 000000009A60: 8652FF52 00FFFFFF
	s_cmp_lt_u32 s82, s66                                      // 000000009A68: BF0A4252
	s_cselect_b32 s21, s36, s60                                // 000000009A6C: 85153C24
	s_mov_b64 exec, s[20:21]                                   // 000000009A70: BEFE0114
	global_atomic_add_f32 v6, v174, s[8:9] offset:8            // 000000009A74: DD348008 0008AE06
	global_atomic_add_f32 v6, v178, s[8:9] offset:264          // 000000009A7C: DD348108 0008B206
	s_mov_b64 exec, s[36:37]                                   // 000000009A84: BEFE0124
	v_mov_b32_e32 v6, v69                                      // 000000009A88: 7E0C0345
	s_mov_b64 s[60:61], 0                                      // 000000009A8C: BEBC0180
	v_readlane_b32 s82, v3, 10                                 // 000000009A90: D2890052 00011503
	s_and_b32 s82, s82, 0xffffff                               // 000000009A98: 8652FF52 00FFFFFF
	s_cmp_lt_u32 s82, s66                                      // 000000009AA0: BF0A4252
	s_cselect_b32 s20, s36, s60                                // 000000009AA4: 85143C24
	v_readlane_b32 s82, v3, 11                                 // 000000009AA8: D2890052 00011703
	s_and_b32 s82, s82, 0xffffff                               // 000000009AB0: 8652FF52 00FFFFFF
	s_cmp_lt_u32 s82, s66                                      // 000000009AB8: BF0A4252
	s_cselect_b32 s21, s36, s60                                // 000000009ABC: 85153C24
	s_mov_b64 exec, s[20:21]                                   // 000000009AC0: BEFE0114
	global_atomic_add_f32 v6, v175, s[8:9] offset:8            // 000000009AC4: DD348008 0008AF06
	global_atomic_add_f32 v6, v179, s[8:9] offset:264          // 000000009ACC: DD348108 0008B306
	s_mov_b64 exec, s[36:37]                                   // 000000009AD4: BEFE0124
	v_mov_b32_e32 v6, v70                                      // 000000009AD8: 7E0C0346
	s_mov_b64 s[60:61], 0                                      // 000000009ADC: BEBC0180
	v_readlane_b32 s82, v3, 12                                 // 000000009AE0: D2890052 00011903
	s_and_b32 s82, s82, 0xffffff                               // 000000009AE8: 8652FF52 00FFFFFF
	s_cmp_lt_u32 s82, s66                                      // 000000009AF0: BF0A4252
	s_cselect_b32 s20, s36, s60                                // 000000009AF4: 85143C24
	v_readlane_b32 s82, v3, 13                                 // 000000009AF8: D2890052 00011B03
	s_and_b32 s82, s82, 0xffffff                               // 000000009B00: 8652FF52 00FFFFFF
	s_cmp_lt_u32 s82, s66                                      // 000000009B08: BF0A4252
	s_cselect_b32 s21, s36, s60                                // 000000009B0C: 85153C24
	s_mov_b64 exec, s[20:21]                                   // 000000009B10: BEFE0114
	global_atomic_add_f32 v6, v182, s[8:9] offset:8            // 000000009B14: DD348008 0008B606
	global_atomic_add_f32 v6, v186, s[8:9] offset:264          // 000000009B1C: DD348108 0008BA06
	s_mov_b64 exec, s[36:37]                                   // 000000009B24: BEFE0124
	v_mov_b32_e32 v6, v71                                      // 000000009B28: 7E0C0347
	s_mov_b64 s[60:61], 0                                      // 000000009B2C: BEBC0180
	v_readlane_b32 s82, v3, 14                                 // 000000009B30: D2890052 00011D03
	s_and_b32 s82, s82, 0xffffff                               // 000000009B38: 8652FF52 00FFFFFF
	s_cmp_lt_u32 s82, s66                                      // 000000009B40: BF0A4252
	s_cselect_b32 s20, s36, s60                                // 000000009B44: 85143C24
	v_readlane_b32 s82, v3, 15                                 // 000000009B48: D2890052 00011F03
	s_and_b32 s82, s82, 0xffffff                               // 000000009B50: 8652FF52 00FFFFFF
	s_cmp_lt_u32 s82, s66                                      // 000000009B58: BF0A4252
	s_cselect_b32 s21, s36, s60                                // 000000009B5C: 85153C24
	s_mov_b64 exec, s[20:21]                                   // 000000009B60: BEFE0114
	global_atomic_add_f32 v6, v183, s[8:9] offset:8            // 000000009B64: DD348008 0008B706
	global_atomic_add_f32 v6, v187, s[8:9] offset:264          // 000000009B6C: DD348108 0008BB06
	s_mov_b64 exec, s[36:37]                                   // 000000009B74: BEFE0124
	v_mov_b32_e32 v6, v72                                      // 000000009B78: 7E0C0348
	s_mov_b64 s[60:61], 0                                      // 000000009B7C: BEBC0180
	v_readlane_b32 s82, v3, 16                                 // 000000009B80: D2890052 00012103
	s_and_b32 s82, s82, 0xffffff                               // 000000009B88: 8652FF52 00FFFFFF
	s_cmp_lt_u32 s82, s66                                      // 000000009B90: BF0A4252
	s_cselect_b32 s20, s36, s60                                // 000000009B94: 85143C24
	v_readlane_b32 s82, v3, 17                                 // 000000009B98: D2890052 00012303
	s_and_b32 s82, s82, 0xffffff                               // 000000009BA0: 8652FF52 00FFFFFF
	s_cmp_lt_u32 s82, s66                                      // 000000009BA8: BF0A4252
	s_cselect_b32 s21, s36, s60                                // 000000009BAC: 85153C24
	s_mov_b64 exec, s[20:21]                                   // 000000009BB0: BEFE0114
	global_atomic_add_f32 v6, v190, s[8:9] offset:8            // 000000009BB4: DD348008 0008BE06
	global_atomic_add_f32 v6, v194, s[8:9] offset:264          // 000000009BBC: DD348108 0008C206
	s_mov_b64 exec, s[36:37]                                   // 000000009BC4: BEFE0124
	v_mov_b32_e32 v6, v73                                      // 000000009BC8: 7E0C0349
	s_mov_b64 s[60:61], 0                                      // 000000009BCC: BEBC0180
	v_readlane_b32 s82, v3, 18                                 // 000000009BD0: D2890052 00012503
	s_and_b32 s82, s82, 0xffffff                               // 000000009BD8: 8652FF52 00FFFFFF
	s_cmp_lt_u32 s82, s66                                      // 000000009BE0: BF0A4252
	s_cselect_b32 s20, s36, s60                                // 000000009BE4: 85143C24
	v_readlane_b32 s82, v3, 19                                 // 000000009BE8: D2890052 00012703
	s_and_b32 s82, s82, 0xffffff                               // 000000009BF0: 8652FF52 00FFFFFF
	s_cmp_lt_u32 s82, s66                                      // 000000009BF8: BF0A4252
	s_cselect_b32 s21, s36, s60                                // 000000009BFC: 85153C24
	s_mov_b64 exec, s[20:21]                                   // 000000009C00: BEFE0114
	global_atomic_add_f32 v6, v191, s[8:9] offset:8            // 000000009C04: DD348008 0008BF06
	global_atomic_add_f32 v6, v195, s[8:9] offset:264          // 000000009C0C: DD348108 0008C306
	s_mov_b64 exec, s[36:37]                                   // 000000009C14: BEFE0124
	v_mov_b32_e32 v6, v74                                      // 000000009C18: 7E0C034A
	s_mov_b64 s[60:61], 0                                      // 000000009C1C: BEBC0180
	v_readlane_b32 s82, v3, 20                                 // 000000009C20: D2890052 00012903
	s_and_b32 s82, s82, 0xffffff                               // 000000009C28: 8652FF52 00FFFFFF
	s_cmp_lt_u32 s82, s66                                      // 000000009C30: BF0A4252
	s_cselect_b32 s20, s36, s60                                // 000000009C34: 85143C24
	v_readlane_b32 s82, v3, 21                                 // 000000009C38: D2890052 00012B03
	s_and_b32 s82, s82, 0xffffff                               // 000000009C40: 8652FF52 00FFFFFF
	s_cmp_lt_u32 s82, s66                                      // 000000009C48: BF0A4252
	s_cselect_b32 s21, s36, s60                                // 000000009C4C: 85153C24
	s_mov_b64 exec, s[20:21]                                   // 000000009C50: BEFE0114
	global_atomic_add_f32 v6, v198, s[8:9] offset:8            // 000000009C54: DD348008 0008C606
	global_atomic_add_f32 v6, v202, s[8:9] offset:264          // 000000009C5C: DD348108 0008CA06
	s_mov_b64 exec, s[36:37]                                   // 000000009C64: BEFE0124
	v_mov_b32_e32 v6, v75                                      // 000000009C68: 7E0C034B
	s_mov_b64 s[60:61], 0                                      // 000000009C6C: BEBC0180
	v_readlane_b32 s82, v3, 22                                 // 000000009C70: D2890052 00012D03
	s_and_b32 s82, s82, 0xffffff                               // 000000009C78: 8652FF52 00FFFFFF
	s_cmp_lt_u32 s82, s66                                      // 000000009C80: BF0A4252
	s_cselect_b32 s20, s36, s60                                // 000000009C84: 85143C24
	v_readlane_b32 s82, v3, 23                                 // 000000009C88: D2890052 00012F03
	s_and_b32 s82, s82, 0xffffff                               // 000000009C90: 8652FF52 00FFFFFF
	s_cmp_lt_u32 s82, s66                                      // 000000009C98: BF0A4252
	s_cselect_b32 s21, s36, s60                                // 000000009C9C: 85153C24
	s_mov_b64 exec, s[20:21]                                   // 000000009CA0: BEFE0114
	global_atomic_add_f32 v6, v199, s[8:9] offset:8            // 000000009CA4: DD348008 0008C706
	global_atomic_add_f32 v6, v203, s[8:9] offset:264          // 000000009CAC: DD348108 0008CB06
	s_mov_b64 exec, s[36:37]                                   // 000000009CB4: BEFE0124
	v_mov_b32_e32 v6, v76                                      // 000000009CB8: 7E0C034C
	s_mov_b64 s[60:61], 0                                      // 000000009CBC: BEBC0180
	v_readlane_b32 s82, v3, 24                                 // 000000009CC0: D2890052 00013103
	s_and_b32 s82, s82, 0xffffff                               // 000000009CC8: 8652FF52 00FFFFFF
	s_cmp_lt_u32 s82, s66                                      // 000000009CD0: BF0A4252
	s_cselect_b32 s20, s36, s60                                // 000000009CD4: 85143C24
	v_readlane_b32 s82, v3, 25                                 // 000000009CD8: D2890052 00013303
	s_and_b32 s82, s82, 0xffffff                               // 000000009CE0: 8652FF52 00FFFFFF
	s_cmp_lt_u32 s82, s66                                      // 000000009CE8: BF0A4252
	s_cselect_b32 s21, s36, s60                                // 000000009CEC: 85153C24
	s_mov_b64 exec, s[20:21]                                   // 000000009CF0: BEFE0114
	global_atomic_add_f32 v6, v206, s[8:9] offset:8            // 000000009CF4: DD348008 0008CE06
	global_atomic_add_f32 v6, v210, s[8:9] offset:264          // 000000009CFC: DD348108 0008D206
	s_mov_b64 exec, s[36:37]                                   // 000000009D04: BEFE0124
	v_mov_b32_e32 v6, v77                                      // 000000009D08: 7E0C034D
	s_mov_b64 s[60:61], 0                                      // 000000009D0C: BEBC0180
	v_readlane_b32 s82, v3, 26                                 // 000000009D10: D2890052 00013503
	s_and_b32 s82, s82, 0xffffff                               // 000000009D18: 8652FF52 00FFFFFF
	s_cmp_lt_u32 s82, s66                                      // 000000009D20: BF0A4252
	s_cselect_b32 s20, s36, s60                                // 000000009D24: 85143C24
	v_readlane_b32 s82, v3, 27                                 // 000000009D28: D2890052 00013703
	s_and_b32 s82, s82, 0xffffff                               // 000000009D30: 8652FF52 00FFFFFF
	s_cmp_lt_u32 s82, s66                                      // 000000009D38: BF0A4252
	s_cselect_b32 s21, s36, s60                                // 000000009D3C: 85153C24
	s_mov_b64 exec, s[20:21]                                   // 000000009D40: BEFE0114
	global_atomic_add_f32 v6, v207, s[8:9] offset:8            // 000000009D44: DD348008 0008CF06
	global_atomic_add_f32 v6, v211, s[8:9] offset:264          // 000000009D4C: DD348108 0008D306
	s_mov_b64 exec, s[36:37]                                   // 000000009D54: BEFE0124
	v_mov_b32_e32 v6, v78                                      // 000000009D58: 7E0C034E
	s_mov_b64 s[60:61], 0                                      // 000000009D5C: BEBC0180
	v_readlane_b32 s82, v3, 28                                 // 000000009D60: D2890052 00013903
	s_and_b32 s82, s82, 0xffffff                               // 000000009D68: 8652FF52 00FFFFFF
	s_cmp_lt_u32 s82, s66                                      // 000000009D70: BF0A4252
	s_cselect_b32 s20, s36, s60                                // 000000009D74: 85143C24
	v_readlane_b32 s82, v3, 29                                 // 000000009D78: D2890052 00013B03
	s_and_b32 s82, s82, 0xffffff                               // 000000009D80: 8652FF52 00FFFFFF
	s_cmp_lt_u32 s82, s66                                      // 000000009D88: BF0A4252
	s_cselect_b32 s21, s36, s60                                // 000000009D8C: 85153C24
	s_mov_b64 exec, s[20:21]                                   // 000000009D90: BEFE0114
	global_atomic_add_f32 v6, v214, s[8:9] offset:8            // 000000009D94: DD348008 0008D606
	global_atomic_add_f32 v6, v218, s[8:9] offset:264          // 000000009D9C: DD348108 0008DA06
	s_mov_b64 exec, s[36:37]                                   // 000000009DA4: BEFE0124
	v_mov_b32_e32 v6, v79                                      // 000000009DA8: 7E0C034F
	s_mov_b64 s[60:61], 0                                      // 000000009DAC: BEBC0180
	v_readlane_b32 s82, v3, 30                                 // 000000009DB0: D2890052 00013D03
	s_and_b32 s82, s82, 0xffffff                               // 000000009DB8: 8652FF52 00FFFFFF
	s_cmp_lt_u32 s82, s66                                      // 000000009DC0: BF0A4252
	s_cselect_b32 s20, s36, s60                                // 000000009DC4: 85143C24
	v_readlane_b32 s82, v3, 31                                 // 000000009DC8: D2890052 00013F03
	s_and_b32 s82, s82, 0xffffff                               // 000000009DD0: 8652FF52 00FFFFFF
	s_cmp_lt_u32 s82, s66                                      // 000000009DD8: BF0A4252
	s_cselect_b32 s21, s36, s60                                // 000000009DDC: 85153C24
	s_mov_b64 exec, s[20:21]                                   // 000000009DE0: BEFE0114
	global_atomic_add_f32 v6, v215, s[8:9] offset:8            // 000000009DE4: DD348008 0008D706
	global_atomic_add_f32 v6, v219, s[8:9] offset:264          // 000000009DEC: DD348108 0008DB06
	s_mov_b64 exec, s[36:37]                                   // 000000009DF4: BEFE0124
	v_mov_b32_e32 v6, v80                                      // 000000009DF8: 7E0C0350
	s_mov_b64 s[60:61], 0                                      // 000000009DFC: BEBC0180
	v_readlane_b32 s82, v3, 32                                 // 000000009E00: D2890052 00014103
	s_and_b32 s82, s82, 0xffffff                               // 000000009E08: 8652FF52 00FFFFFF
	s_cmp_lt_u32 s82, s66                                      // 000000009E10: BF0A4252
	s_cselect_b32 s20, s36, s60                                // 000000009E14: 85143C24
	v_readlane_b32 s82, v3, 33                                 // 000000009E18: D2890052 00014303
	s_and_b32 s82, s82, 0xffffff                               // 000000009E20: 8652FF52 00FFFFFF
	s_cmp_lt_u32 s82, s66                                      // 000000009E28: BF0A4252
	s_cselect_b32 s21, s36, s60                                // 000000009E2C: 85153C24
	s_mov_b64 exec, s[20:21]                                   // 000000009E30: BEFE0114
	global_atomic_add_f32 v6, v222, s[8:9] offset:8            // 000000009E34: DD348008 0008DE06
	global_atomic_add_f32 v6, v226, s[8:9] offset:264          // 000000009E3C: DD348108 0008E206
	s_mov_b64 exec, s[36:37]                                   // 000000009E44: BEFE0124
	v_mov_b32_e32 v6, v81                                      // 000000009E48: 7E0C0351
	s_mov_b64 s[60:61], 0                                      // 000000009E4C: BEBC0180
	v_readlane_b32 s82, v3, 34                                 // 000000009E50: D2890052 00014503
	s_and_b32 s82, s82, 0xffffff                               // 000000009E58: 8652FF52 00FFFFFF
	s_cmp_lt_u32 s82, s66                                      // 000000009E60: BF0A4252
	s_cselect_b32 s20, s36, s60                                // 000000009E64: 85143C24
	v_readlane_b32 s82, v3, 35                                 // 000000009E68: D2890052 00014703
	s_and_b32 s82, s82, 0xffffff                               // 000000009E70: 8652FF52 00FFFFFF
	s_cmp_lt_u32 s82, s66                                      // 000000009E78: BF0A4252
	s_cselect_b32 s21, s36, s60                                // 000000009E7C: 85153C24
	s_mov_b64 exec, s[20:21]                                   // 000000009E80: BEFE0114
	global_atomic_add_f32 v6, v223, s[8:9] offset:8            // 000000009E84: DD348008 0008DF06
	global_atomic_add_f32 v6, v227, s[8:9] offset:264          // 000000009E8C: DD348108 0008E306
	s_mov_b64 exec, s[36:37]                                   // 000000009E94: BEFE0124
	s_branch label_3676                                        // 000000009E98: BF82194C

0000000000009e9c <label_1D2A>:
	s_waitcnt vmcnt(2) lgkmcnt(0)                              // 000000009E9C: BF8C0072
	s_barrier                                                  // 000000009EA0: BF8A0000
	v_mfma_i32_16x16x32_i8 v[84:87], a[144:145], a[0:1], v[84:87]// 000000009EA4: D3D70054 1D520190
	buffer_load_dwordx4 a[160:163], v82, s[84:87], 0 offen     // 000000009EAC: E05C1000 8095A052
	v_mfma_i32_16x16x32_i8 v[84:87], a[146:147], a[2:3], v[84:87]// 000000009EB4: D3D70054 1D520592
	v_mfma_i32_16x16x32_i8 v[84:87], a[148:149], a[4:5], v[84:87]// 000000009EBC: D3D70054 1D520994
	v_mfma_i32_16x16x32_i8 v[84:87], a[150:151], a[6:7], v[84:87]// 000000009EC4: D3D70054 1D520D96
	v_mfma_i32_16x16x32_i8 v[88:91], a[144:145], a[8:9], v[88:91]// 000000009ECC: D3D70058 1D621190
	buffer_load_dwordx4 a[164:167], v82, s[84:87], 0 offen offset:1024// 000000009ED4: E05C1400 8095A452
	v_mfma_i32_16x16x32_i8 v[88:91], a[146:147], a[10:11], v[88:91]// 000000009EDC: D3D70058 1D621592
	v_mfma_i32_16x16x32_i8 v[88:91], a[148:149], a[12:13], v[88:91]// 000000009EE4: D3D70058 1D621994
	v_mfma_i32_16x16x32_i8 v[88:91], a[150:151], a[14:15], v[88:91]// 000000009EEC: D3D70058 1D621D96
	v_mfma_i32_16x16x32_i8 v[92:95], a[144:145], a[16:17], v[92:95]// 000000009EF4: D3D7005C 1D722190
	buffer_load_dwordx4 a[168:171], v83, s[84:87], 0 offen     // 000000009EFC: E05C1000 8095A853
	v_mfma_i32_16x16x32_i8 v[92:95], a[146:147], a[18:19], v[92:95]// 000000009F04: D3D7005C 1D722592
	v_mfma_i32_16x16x32_i8 v[92:95], a[148:149], a[20:21], v[92:95]// 000000009F0C: D3D7005C 1D722994
	v_mfma_i32_16x16x32_i8 v[92:95], a[150:151], a[22:23], v[92:95]// 000000009F14: D3D7005C 1D722D96
	v_mfma_i32_16x16x32_i8 v[96:99], a[144:145], a[24:25], v[96:99]// 000000009F1C: D3D70060 1D823190
	buffer_load_dwordx4 a[172:175], v83, s[84:87], 0 offen offset:1024// 000000009F24: E05C1400 8095AC53
	buffer_load_dword v64, s[20:23], 0 offen lds               // 000000009F2C: E0511000 80050040
	s_add_u32 m0, 0x100, s48                                   // 000000009F34: 807C30FF 00000100
	v_mfma_i32_16x16x32_i8 v[96:99], a[146:147], a[26:27], v[96:99]// 000000009F3C: D3D70060 1D823592
	v_mfma_i32_16x16x32_i8 v[96:99], a[148:149], a[28:29], v[96:99]// 000000009F44: D3D70060 1D823994
	buffer_load_dword v65, s[20:23], 0 offen lds               // 000000009F4C: E0511000 80050041
	s_add_u32 m0, 0x200, s48                                   // 000000009F54: 807C30FF 00000200
	v_mfma_i32_16x16x32_i8 v[96:99], a[150:151], a[30:31], v[96:99]// 000000009F5C: D3D70060 1D823D96
	v_mfma_i32_16x16x32_i8 v[100:103], a[144:145], a[32:33], v[100:103]// 000000009F64: D3D70064 1D924190
	buffer_load_dword v66, s[20:23], 0 offen lds               // 000000009F6C: E0511000 80050042
	s_add_u32 m0, 0x300, s48                                   // 000000009F74: 807C30FF 00000300
	v_mfma_i32_16x16x32_i8 v[100:103], a[146:147], a[34:35], v[100:103]// 000000009F7C: D3D70064 1D924592
	v_mfma_i32_16x16x32_i8 v[100:103], a[148:149], a[36:37], v[100:103]// 000000009F84: D3D70064 1D924994
	buffer_load_dword v67, s[20:23], 0 offen lds               // 000000009F8C: E0511000 80050043
	s_add_u32 m0, 0x400, s48                                   // 000000009F94: 807C30FF 00000400
	v_mfma_i32_16x16x32_i8 v[100:103], a[150:151], a[38:39], v[100:103]// 000000009F9C: D3D70064 1D924D96
	v_mfma_i32_16x16x32_i8 v[104:107], a[144:145], a[40:41], v[104:107]// 000000009FA4: D3D70068 1DA25190
	buffer_load_dword v68, s[20:23], 0 offen lds               // 000000009FAC: E0511000 80050044
	s_add_u32 m0, 0x500, s48                                   // 000000009FB4: 807C30FF 00000500
	v_mfma_i32_16x16x32_i8 v[104:107], a[146:147], a[42:43], v[104:107]// 000000009FBC: D3D70068 1DA25592
	v_mfma_i32_16x16x32_i8 v[104:107], a[148:149], a[44:45], v[104:107]// 000000009FC4: D3D70068 1DA25994
	buffer_load_dword v69, s[20:23], 0 offen lds               // 000000009FCC: E0511000 80050045
	s_add_u32 m0, 0x600, s48                                   // 000000009FD4: 807C30FF 00000600
	v_mfma_i32_16x16x32_i8 v[104:107], a[150:151], a[46:47], v[104:107]// 000000009FDC: D3D70068 1DA25D96
	v_mfma_i32_16x16x32_i8 v[108:111], a[144:145], a[48:49], v[108:111]// 000000009FE4: D3D7006C 1DB26190
	buffer_load_dword v70, s[20:23], 0 offen lds               // 000000009FEC: E0511000 80050046
	s_add_u32 m0, 0x700, s48                                   // 000000009FF4: 807C30FF 00000700
	v_mfma_i32_16x16x32_i8 v[108:111], a[146:147], a[50:51], v[108:111]// 000000009FFC: D3D7006C 1DB26592
	v_mfma_i32_16x16x32_i8 v[108:111], a[148:149], a[52:53], v[108:111]// 00000000A004: D3D7006C 1DB26994
	buffer_load_dword v71, s[20:23], 0 offen lds               // 00000000A00C: E0511000 80050047
	s_add_u32 m0, 0x800, s48                                   // 00000000A014: 807C30FF 00000800
	v_mfma_i32_16x16x32_i8 v[108:111], a[150:151], a[54:55], v[108:111]// 00000000A01C: D3D7006C 1DB26D96
	v_mfma_i32_16x16x32_i8 v[112:115], a[144:145], a[56:57], v[112:115]// 00000000A024: D3D70070 1DC27190
	buffer_load_dword v72, s[20:23], 0 offen lds               // 00000000A02C: E0511000 80050048
	s_add_u32 m0, 0x900, s48                                   // 00000000A034: 807C30FF 00000900
	v_mfma_i32_16x16x32_i8 v[112:115], a[146:147], a[58:59], v[112:115]// 00000000A03C: D3D70070 1DC27592
	v_mfma_i32_16x16x32_i8 v[112:115], a[148:149], a[60:61], v[112:115]// 00000000A044: D3D70070 1DC27994
	buffer_load_dword v73, s[20:23], 0 offen lds               // 00000000A04C: E0511000 80050049
	s_add_u32 m0, 0xa00, s48                                   // 00000000A054: 807C30FF 00000A00
	v_mfma_i32_16x16x32_i8 v[112:115], a[150:151], a[62:63], v[112:115]// 00000000A05C: D3D70070 1DC27D96
	v_mfma_i32_16x16x32_i8 v[116:119], a[144:145], a[64:65], v[116:119]// 00000000A064: D3D70074 1DD28190
	buffer_load_dword v74, s[20:23], 0 offen lds               // 00000000A06C: E0511000 8005004A
	s_add_u32 m0, 0xb00, s48                                   // 00000000A074: 807C30FF 00000B00
	v_mfma_i32_16x16x32_i8 v[116:119], a[146:147], a[66:67], v[116:119]// 00000000A07C: D3D70074 1DD28592
	v_mfma_i32_16x16x32_i8 v[116:119], a[148:149], a[68:69], v[116:119]// 00000000A084: D3D70074 1DD28994
	buffer_load_dword v75, s[20:23], 0 offen lds               // 00000000A08C: E0511000 8005004B
	s_add_u32 m0, 0xc00, s48                                   // 00000000A094: 807C30FF 00000C00
	v_mfma_i32_16x16x32_i8 v[116:119], a[150:151], a[70:71], v[116:119]// 00000000A09C: D3D70074 1DD28D96
	s_waitcnt vmcnt(16)                                        // 00000000A0A4: BF8C4F70
	v_mfma_i32_16x16x32_i8 v[120:123], a[152:153], a[0:1], v[120:123]// 00000000A0A8: D3D70078 1DE20198
	buffer_load_dword v76, s[20:23], 0 offen lds               // 00000000A0B0: E0511000 8005004C
	s_add_u32 m0, 0xd00, s48                                   // 00000000A0B8: 807C30FF 00000D00
	v_mfma_i32_16x16x32_i8 v[120:123], a[154:155], a[2:3], v[120:123]// 00000000A0C0: D3D70078 1DE2059A
	v_mfma_i32_16x16x32_i8 v[120:123], a[156:157], a[4:5], v[120:123]// 00000000A0C8: D3D70078 1DE2099C
	buffer_load_dword v77, s[20:23], 0 offen lds               // 00000000A0D0: E0511000 8005004D
	s_add_u32 m0, 0xe00, s48                                   // 00000000A0D8: 807C30FF 00000E00
	v_mfma_i32_16x16x32_i8 v[120:123], a[158:159], a[6:7], v[120:123]// 00000000A0E0: D3D70078 1DE20D9E
	v_mfma_i32_16x16x32_i8 v[124:127], a[152:153], a[8:9], v[124:127]// 00000000A0E8: D3D7007C 1DF21198
	buffer_load_dword v78, s[20:23], 0 offen lds               // 00000000A0F0: E0511000 8005004E
	s_add_u32 m0, 0xf00, s48                                   // 00000000A0F8: 807C30FF 00000F00
	v_mfma_i32_16x16x32_i8 v[124:127], a[154:155], a[10:11], v[124:127]// 00000000A100: D3D7007C 1DF2159A
	v_mfma_i32_16x16x32_i8 v[124:127], a[156:157], a[12:13], v[124:127]// 00000000A108: D3D7007C 1DF2199C
	buffer_load_dword v79, s[20:23], 0 offen lds               // 00000000A110: E0511000 8005004F
	s_add_u32 m0, 0x1000, s48                                  // 00000000A118: 807C30FF 00001000
	v_mfma_i32_16x16x32_i8 v[124:127], a[158:159], a[14:15], v[124:127]// 00000000A120: D3D7007C 1DF21D9E
	v_mfma_i32_16x16x32_i8 v[128:131], a[152:153], a[16:17], v[128:131]// 00000000A128: D3D70080 1E022198
	buffer_load_dword v80, s[20:23], 0 offen lds               // 00000000A130: E0511000 80050050
	s_add_u32 m0, 0x1100, s48                                  // 00000000A138: 807C30FF 00001100
	v_mfma_i32_16x16x32_i8 v[128:131], a[154:155], a[18:19], v[128:131]// 00000000A140: D3D70080 1E02259A
	v_mfma_i32_16x16x32_i8 v[128:131], a[156:157], a[20:21], v[128:131]// 00000000A148: D3D70080 1E02299C
	buffer_load_dword v81, s[20:23], 0 offen lds               // 00000000A150: E0511000 80050051
	s_add_u32 m0, 0, s49                                       // 00000000A158: 807C3180
	v_mfma_i32_16x16x32_i8 v[128:131], a[158:159], a[22:23], v[128:131]// 00000000A15C: D3D70080 1E022D9E
	v_mfma_i32_16x16x32_i8 v[132:135], a[152:153], a[24:25], v[132:135]// 00000000A164: D3D70084 1E123198
	v_mfma_i32_16x16x32_i8 v[132:135], a[154:155], a[26:27], v[132:135]// 00000000A16C: D3D70084 1E12359A
	v_mfma_i32_16x16x32_i8 v[132:135], a[156:157], a[28:29], v[132:135]// 00000000A174: D3D70084 1E12399C
	v_mfma_i32_16x16x32_i8 v[132:135], a[158:159], a[30:31], v[132:135]// 00000000A17C: D3D70084 1E123D9E
	v_mfma_i32_16x16x32_i8 v[136:139], a[152:153], a[32:33], v[136:139]// 00000000A184: D3D70088 1E224198
	v_mfma_i32_16x16x32_i8 v[136:139], a[154:155], a[34:35], v[136:139]// 00000000A18C: D3D70088 1E22459A
	v_mfma_i32_16x16x32_i8 v[136:139], a[156:157], a[36:37], v[136:139]// 00000000A194: D3D70088 1E22499C
	v_mfma_i32_16x16x32_i8 v[136:139], a[158:159], a[38:39], v[136:139]// 00000000A19C: D3D70088 1E224D9E
	v_mfma_i32_16x16x32_i8 v[140:143], a[152:153], a[40:41], v[140:143]// 00000000A1A4: D3D7008C 1E325198
	v_mfma_i32_16x16x32_i8 v[140:143], a[154:155], a[42:43], v[140:143]// 00000000A1AC: D3D7008C 1E32559A
	v_mfma_i32_16x16x32_i8 v[140:143], a[156:157], a[44:45], v[140:143]// 00000000A1B4: D3D7008C 1E32599C
	v_mfma_i32_16x16x32_i8 v[140:143], a[158:159], a[46:47], v[140:143]// 00000000A1BC: D3D7008C 1E325D9E
	v_mfma_i32_16x16x32_i8 v[144:147], a[152:153], a[48:49], v[144:147]// 00000000A1C4: D3D70090 1E426198
	v_mfma_i32_16x16x32_i8 v[144:147], a[154:155], a[50:51], v[144:147]// 00000000A1CC: D3D70090 1E42659A
	v_mfma_i32_16x16x32_i8 v[144:147], a[156:157], a[52:53], v[144:147]// 00000000A1D4: D3D70090 1E42699C
	v_mfma_i32_16x16x32_i8 v[144:147], a[158:159], a[54:55], v[144:147]// 00000000A1DC: D3D70090 1E426D9E
	v_mfma_i32_16x16x32_i8 v[148:151], a[152:153], a[56:57], v[148:151]// 00000000A1E4: D3D70094 1E527198
	v_mfma_i32_16x16x32_i8 v[148:151], a[154:155], a[58:59], v[148:151]// 00000000A1EC: D3D70094 1E52759A
	v_mfma_i32_16x16x32_i8 v[148:151], a[156:157], a[60:61], v[148:151]// 00000000A1F4: D3D70094 1E52799C
	v_mfma_i32_16x16x32_i8 v[148:151], a[158:159], a[62:63], v[148:151]// 00000000A1FC: D3D70094 1E527D9E
	v_mfma_i32_16x16x32_i8 v[152:155], a[152:153], a[64:65], v[152:155]// 00000000A204: D3D70098 1E628198
	v_mfma_i32_16x16x32_i8 v[152:155], a[154:155], a[66:67], v[152:155]// 00000000A20C: D3D70098 1E62859A
	s_add_u32 s60, 0x80, s80                                   // 00000000A214: 803C50FF 00000080
	s_cmp_lt_u32 s60, s81                                      // 00000000A21C: BF0A513C
	s_cselect_b32 s83, s83, 0                                  // 00000000A220: 85538053
	v_mfma_i32_16x16x32_i8 v[152:155], a[156:157], a[68:69], v[152:155]// 00000000A224: D3D70098 1E62899C
	v_mfma_i32_16x16x32_i8 v[152:155], a[158:159], a[70:71], v[152:155]// 00000000A22C: D3D70098 1E628D9E
	s_waitcnt vmcnt(18)                                        // 00000000A234: BF8C4F72
	v_mfma_i32_16x16x32_i8 v[156:159], a[160:161], a[0:1], v[156:159]// 00000000A238: D3D7009C 1E7201A0
	buffer_load_dwordx4 a[144:147], v82, s[24:27], 0 offen     // 00000000A240: E05C1000 80869052
	v_mfma_i32_16x16x32_i8 v[156:159], a[162:163], a[2:3], v[156:159]// 00000000A248: D3D7009C 1E7205A2
	v_mfma_i32_16x16x32_i8 v[156:159], a[164:165], a[4:5], v[156:159]// 00000000A250: D3D7009C 1E7209A4
	ds_read_b128 a[72:75], v2 offset:18560                     // 00000000A258: DBFE4880 48000002
	ds_read_b128 a[76:79], v2 offset:18624                     // 00000000A260: DBFE48C0 4C000002
	v_mfma_i32_16x16x32_i8 v[156:159], a[166:167], a[6:7], v[156:159]// 00000000A268: D3D7009C 1E720DA6
	v_mfma_i32_16x16x32_i8 v[192:195], a[168:169], a[0:1], v[192:195]// 00000000A270: D3D700C0 1F0201A8
	buffer_load_dwordx4 a[148:151], v82, s[24:27], 0 offen offset:1024// 00000000A278: E05C1400 80869452
	v_mfma_i32_16x16x32_i8 v[192:195], a[170:171], a[2:3], v[192:195]// 00000000A280: D3D700C0 1F0205AA
	v_mfma_i32_16x16x32_i8 v[192:195], a[172:173], a[4:5], v[192:195]// 00000000A288: D3D700C0 1F0209AC
	ds_read_b128 a[80:83], v2 offset:19072                     // 00000000A290: DBFE4A80 50000002
	ds_read_b128 a[84:87], v2 offset:19136                     // 00000000A298: DBFE4AC0 54000002
	v_mfma_i32_16x16x32_i8 v[192:195], a[174:175], a[6:7], v[192:195]// 00000000A2A0: D3D700C0 1F020DAE
	v_mfma_i32_16x16x32_i8 v[160:163], a[160:161], a[8:9], v[160:163]// 00000000A2A8: D3D700A0 1E8211A0
	buffer_load_dwordx4 a[152:155], v83, s[24:27], 0 offen     // 00000000A2B0: E05C1000 80869853
	v_mfma_i32_16x16x32_i8 v[160:163], a[162:163], a[10:11], v[160:163]// 00000000A2B8: D3D700A0 1E8215A2
	v_mfma_i32_16x16x32_i8 v[160:163], a[164:165], a[12:13], v[160:163]// 00000000A2C0: D3D700A0 1E8219A4
	ds_read_b128 a[88:91], v2 offset:19584                     // 00000000A2C8: DBFE4C80 58000002
	ds_read_b128 a[92:95], v2 offset:19648                     // 00000000A2D0: DBFE4CC0 5C000002
	v_mfma_i32_16x16x32_i8 v[160:163], a[166:167], a[14:15], v[160:163]// 00000000A2D8: D3D700A0 1E821DA6
	v_mfma_i32_16x16x32_i8 v[196:199], a[168:169], a[8:9], v[196:199]// 00000000A2E0: D3D700C4 1F1211A8
	buffer_load_dwordx4 a[156:159], v83, s[24:27], 0 offen offset:1024// 00000000A2E8: E05C1400 80869C53
	v_mfma_i32_16x16x32_i8 v[196:199], a[170:171], a[10:11], v[196:199]// 00000000A2F0: D3D700C4 1F1215AA
	v_mfma_i32_16x16x32_i8 v[196:199], a[172:173], a[12:13], v[196:199]// 00000000A2F8: D3D700C4 1F1219AC
	ds_read_b128 a[96:99], v2 offset:20096                     // 00000000A300: DBFE4E80 60000002
	ds_read_b128 a[100:103], v2 offset:20160                   // 00000000A308: DBFE4EC0 64000002
	v_mfma_i32_16x16x32_i8 v[196:199], a[174:175], a[14:15], v[196:199]// 00000000A310: D3D700C4 1F121DAE
	v_mfma_i32_16x16x32_i8 v[164:167], a[160:161], a[16:17], v[164:167]// 00000000A318: D3D700A4 1E9221A0
	v_mfma_i32_16x16x32_i8 v[164:167], a[162:163], a[18:19], v[164:167]// 00000000A320: D3D700A4 1E9225A2
	v_mfma_i32_16x16x32_i8 v[164:167], a[164:165], a[20:21], v[164:167]// 00000000A328: D3D700A4 1E9229A4
	ds_read_b128 a[104:107], v2 offset:20608                   // 00000000A330: DBFE5080 68000002
	ds_read_b128 a[108:111], v2 offset:20672                   // 00000000A338: DBFE50C0 6C000002
	v_mfma_i32_16x16x32_i8 v[164:167], a[166:167], a[22:23], v[164:167]// 00000000A340: D3D700A4 1E922DA6
	v_mfma_i32_16x16x32_i8 v[200:203], a[168:169], a[16:17], v[200:203]// 00000000A348: D3D700C8 1F2221A8
	v_mfma_i32_16x16x32_i8 v[200:203], a[170:171], a[18:19], v[200:203]// 00000000A350: D3D700C8 1F2225AA
	v_mfma_i32_16x16x32_i8 v[200:203], a[172:173], a[20:21], v[200:203]// 00000000A358: D3D700C8 1F2229AC
	ds_read_b128 a[112:115], v2 offset:21120                   // 00000000A360: DBFE5280 70000002
	ds_read_b128 a[116:119], v2 offset:21184                   // 00000000A368: DBFE52C0 74000002
	v_mfma_i32_16x16x32_i8 v[200:203], a[174:175], a[22:23], v[200:203]// 00000000A370: D3D700C8 1F222DAE
	v_mfma_i32_16x16x32_i8 v[168:171], a[160:161], a[24:25], v[168:171]// 00000000A378: D3D700A8 1EA231A0
	v_mfma_i32_16x16x32_i8 v[168:171], a[162:163], a[26:27], v[168:171]// 00000000A380: D3D700A8 1EA235A2
	v_mfma_i32_16x16x32_i8 v[168:171], a[164:165], a[28:29], v[168:171]// 00000000A388: D3D700A8 1EA239A4
	ds_read_b128 a[120:123], v2 offset:21632                   // 00000000A390: DBFE5480 78000002
	ds_read_b128 a[124:127], v2 offset:21696                   // 00000000A398: DBFE54C0 7C000002
	v_mfma_i32_16x16x32_i8 v[168:171], a[166:167], a[30:31], v[168:171]// 00000000A3A0: D3D700A8 1EA23DA6
	v_mfma_i32_16x16x32_i8 v[204:207], a[168:169], a[24:25], v[204:207]// 00000000A3A8: D3D700CC 1F3231A8
	v_mfma_i32_16x16x32_i8 v[204:207], a[170:171], a[26:27], v[204:207]// 00000000A3B0: D3D700CC 1F3235AA
	v_mfma_i32_16x16x32_i8 v[204:207], a[172:173], a[28:29], v[204:207]// 00000000A3B8: D3D700CC 1F3239AC
	ds_read_b128 a[128:131], v2 offset:22144                   // 00000000A3C0: DBFE5680 80000002
	ds_read_b128 a[132:135], v2 offset:22208                   // 00000000A3C8: DBFE56C0 84000002
	v_mfma_i32_16x16x32_i8 v[204:207], a[174:175], a[30:31], v[204:207]// 00000000A3D0: D3D700CC 1F323DAE
	v_mfma_i32_16x16x32_i8 v[172:175], a[160:161], a[32:33], v[172:175]// 00000000A3D8: D3D700AC 1EB241A0
	v_mfma_i32_16x16x32_i8 v[172:175], a[162:163], a[34:35], v[172:175]// 00000000A3E0: D3D700AC 1EB245A2
	v_mfma_i32_16x16x32_i8 v[172:175], a[164:165], a[36:37], v[172:175]// 00000000A3E8: D3D700AC 1EB249A4
	ds_read_b128 a[136:139], v2 offset:22656                   // 00000000A3F0: DBFE5880 88000002
	ds_read_b128 a[140:143], v2 offset:22720                   // 00000000A3F8: DBFE58C0 8C000002
	v_mfma_i32_16x16x32_i8 v[172:175], a[166:167], a[38:39], v[172:175]// 00000000A400: D3D700AC 1EB24DA6
	v_mfma_i32_16x16x32_i8 v[208:211], a[168:169], a[32:33], v[208:211]// 00000000A408: D3D700D0 1F4241A8
	v_mfma_i32_16x16x32_i8 v[208:211], a[170:171], a[34:35], v[208:211]// 00000000A410: D3D700D0 1F4245AA
	v_mfma_i32_16x16x32_i8 v[208:211], a[172:173], a[36:37], v[208:211]// 00000000A418: D3D700D0 1F4249AC
	v_mfma_i32_16x16x32_i8 v[208:211], a[174:175], a[38:39], v[208:211]// 00000000A420: D3D700D0 1F424DAE
	v_mfma_i32_16x16x32_i8 v[176:179], a[160:161], a[40:41], v[176:179]// 00000000A428: D3D700B0 1EC251A0
	v_mfma_i32_16x16x32_i8 v[176:179], a[162:163], a[42:43], v[176:179]// 00000000A430: D3D700B0 1EC255A2
	v_mfma_i32_16x16x32_i8 v[176:179], a[164:165], a[44:45], v[176:179]// 00000000A438: D3D700B0 1EC259A4
	v_mfma_i32_16x16x32_i8 v[176:179], a[166:167], a[46:47], v[176:179]// 00000000A440: D3D700B0 1EC25DA6
	v_mfma_i32_16x16x32_i8 v[212:215], a[168:169], a[40:41], v[212:215]// 00000000A448: D3D700D4 1F5251A8
	v_mfma_i32_16x16x32_i8 v[212:215], a[170:171], a[42:43], v[212:215]// 00000000A450: D3D700D4 1F5255AA
	v_mfma_i32_16x16x32_i8 v[212:215], a[172:173], a[44:45], v[212:215]// 00000000A458: D3D700D4 1F5259AC
	v_mfma_i32_16x16x32_i8 v[212:215], a[174:175], a[46:47], v[212:215]// 00000000A460: D3D700D4 1F525DAE
	v_mfma_i32_16x16x32_i8 v[180:183], a[160:161], a[48:49], v[180:183]// 00000000A468: D3D700B4 1ED261A0
	v_mfma_i32_16x16x32_i8 v[180:183], a[162:163], a[50:51], v[180:183]// 00000000A470: D3D700B4 1ED265A2
	v_mfma_i32_16x16x32_i8 v[180:183], a[164:165], a[52:53], v[180:183]// 00000000A478: D3D700B4 1ED269A4
	v_mfma_i32_16x16x32_i8 v[180:183], a[166:167], a[54:55], v[180:183]// 00000000A480: D3D700B4 1ED26DA6
	v_mfma_i32_16x16x32_i8 v[216:219], a[168:169], a[48:49], v[216:219]// 00000000A488: D3D700D8 1F6261A8
	v_mfma_i32_16x16x32_i8 v[216:219], a[170:171], a[50:51], v[216:219]// 00000000A490: D3D700D8 1F6265AA
	v_mfma_i32_16x16x32_i8 v[216:219], a[172:173], a[52:53], v[216:219]// 00000000A498: D3D700D8 1F6269AC
	v_mfma_i32_16x16x32_i8 v[216:219], a[174:175], a[54:55], v[216:219]// 00000000A4A0: D3D700D8 1F626DAE
	v_mfma_i32_16x16x32_i8 v[184:187], a[160:161], a[56:57], v[184:187]// 00000000A4A8: D3D700B8 1EE271A0
	v_mfma_i32_16x16x32_i8 v[184:187], a[162:163], a[58:59], v[184:187]// 00000000A4B0: D3D700B8 1EE275A2
	v_mfma_i32_16x16x32_i8 v[184:187], a[164:165], a[60:61], v[184:187]// 00000000A4B8: D3D700B8 1EE279A4
	v_mfma_i32_16x16x32_i8 v[184:187], a[166:167], a[62:63], v[184:187]// 00000000A4C0: D3D700B8 1EE27DA6
	v_mfma_i32_16x16x32_i8 v[220:223], a[168:169], a[56:57], v[220:223]// 00000000A4C8: D3D700DC 1F7271A8
	v_mfma_i32_16x16x32_i8 v[220:223], a[170:171], a[58:59], v[220:223]// 00000000A4D0: D3D700DC 1F7275AA
	v_mfma_i32_16x16x32_i8 v[220:223], a[172:173], a[60:61], v[220:223]// 00000000A4D8: D3D700DC 1F7279AC
	v_mfma_i32_16x16x32_i8 v[220:223], a[174:175], a[62:63], v[220:223]// 00000000A4E0: D3D700DC 1F727DAE
	v_mfma_i32_16x16x32_i8 v[188:191], a[160:161], a[64:65], v[188:191]// 00000000A4E8: D3D700BC 1EF281A0
	v_mfma_i32_16x16x32_i8 v[188:191], a[162:163], a[66:67], v[188:191]// 00000000A4F0: D3D700BC 1EF285A2
	v_mfma_i32_16x16x32_i8 v[188:191], a[164:165], a[68:69], v[188:191]// 00000000A4F8: D3D700BC 1EF289A4
	s_add_u32 s60, 0x180, s80                                  // 00000000A500: 803C50FF 00000180
	s_cmp_lt_u32 s60, s81                                      // 00000000A508: BF0A513C
	s_cselect_b32 s57, s57, 0                                  // 00000000A50C: 85398039
	v_mfma_i32_16x16x32_i8 v[188:191], a[166:167], a[70:71], v[188:191]// 00000000A510: D3D700BC 1EF28DA6
	s_add_u32 s60, 0x100, s80                                  // 00000000A518: 803C50FF 00000100
	s_cmp_lt_u32 s60, s81                                      // 00000000A520: BF0A513C
	s_cselect_b32 s58, s58, 0                                  // 00000000A524: 853A803A
	v_mfma_i32_16x16x32_i8 v[224:227], a[168:169], a[64:65], v[224:227]// 00000000A528: D3D700E0 1F8281A8
	s_add_u32 s24, s58, s24                                    // 00000000A530: 8018183A
	s_addc_u32 s25, 0, s25                                     // 00000000A534: 82191980
	v_mfma_i32_16x16x32_i8 v[224:227], a[170:171], a[66:67], v[224:227]// 00000000A538: D3D700E0 1F8285AA
	s_add_u32 s20, s57, s20                                    // 00000000A540: 80141439
	s_addc_u32 s21, 0, s21                                     // 00000000A544: 82151580
	v_mfma_i32_16x16x32_i8 v[224:227], a[172:173], a[68:69], v[224:227]// 00000000A548: D3D700E0 1F8289AC
	s_add_u32 s84, s83, s84                                    // 00000000A550: 80545453
	s_addc_u32 s85, 0, s85                                     // 00000000A554: 82555580
	v_mfma_i32_16x16x32_i8 v[224:227], a[174:175], a[70:71], v[224:227]// 00000000A558: D3D700E0 1F828DAE
	s_addk_i32 s80, 0x80                                       // 00000000A560: B7500080
	s_cmp_lt_i32 s80, s81                                      // 00000000A564: BF045150
	s_cbranch_scc0 label_2093                                  // 00000000A568: BF8401B5
	s_waitcnt vmcnt(2) lgkmcnt(0)                              // 00000000A56C: BF8C0072
	s_barrier                                                  // 00000000A570: BF8A0000
	v_mfma_i32_16x16x32_i8 v[84:87], a[144:145], a[72:73], v[84:87]// 00000000A574: D3D70054 1D529190
	buffer_load_dwordx4 a[160:163], v82, s[84:87], 0 offen     // 00000000A57C: E05C1000 8095A052
	v_mfma_i32_16x16x32_i8 v[84:87], a[146:147], a[74:75], v[84:87]// 00000000A584: D3D70054 1D529592
	v_mfma_i32_16x16x32_i8 v[84:87], a[148:149], a[76:77], v[84:87]// 00000000A58C: D3D70054 1D529994
	v_mfma_i32_16x16x32_i8 v[84:87], a[150:151], a[78:79], v[84:87]// 00000000A594: D3D70054 1D529D96
	v_mfma_i32_16x16x32_i8 v[88:91], a[144:145], a[80:81], v[88:91]// 00000000A59C: D3D70058 1D62A190
	buffer_load_dwordx4 a[164:167], v82, s[84:87], 0 offen offset:1024// 00000000A5A4: E05C1400 8095A452
	v_mfma_i32_16x16x32_i8 v[88:91], a[146:147], a[82:83], v[88:91]// 00000000A5AC: D3D70058 1D62A592
	v_mfma_i32_16x16x32_i8 v[88:91], a[148:149], a[84:85], v[88:91]// 00000000A5B4: D3D70058 1D62A994
	v_mfma_i32_16x16x32_i8 v[88:91], a[150:151], a[86:87], v[88:91]// 00000000A5BC: D3D70058 1D62AD96
	v_mfma_i32_16x16x32_i8 v[92:95], a[144:145], a[88:89], v[92:95]// 00000000A5C4: D3D7005C 1D72B190
	buffer_load_dwordx4 a[168:171], v83, s[84:87], 0 offen     // 00000000A5CC: E05C1000 8095A853
	v_mfma_i32_16x16x32_i8 v[92:95], a[146:147], a[90:91], v[92:95]// 00000000A5D4: D3D7005C 1D72B592
	v_mfma_i32_16x16x32_i8 v[92:95], a[148:149], a[92:93], v[92:95]// 00000000A5DC: D3D7005C 1D72B994
	v_mfma_i32_16x16x32_i8 v[92:95], a[150:151], a[94:95], v[92:95]// 00000000A5E4: D3D7005C 1D72BD96
	v_mfma_i32_16x16x32_i8 v[96:99], a[144:145], a[96:97], v[96:99]// 00000000A5EC: D3D70060 1D82C190
	buffer_load_dwordx4 a[172:175], v83, s[84:87], 0 offen offset:1024// 00000000A5F4: E05C1400 8095AC53
	buffer_load_dword v64, s[20:23], 0 offen lds               // 00000000A5FC: E0511000 80050040
	s_add_u32 m0, 0x100, s49                                   // 00000000A604: 807C31FF 00000100
	v_mfma_i32_16x16x32_i8 v[96:99], a[146:147], a[98:99], v[96:99]// 00000000A60C: D3D70060 1D82C592
	v_mfma_i32_16x16x32_i8 v[96:99], a[148:149], a[100:101], v[96:99]// 00000000A614: D3D70060 1D82C994
	buffer_load_dword v65, s[20:23], 0 offen lds               // 00000000A61C: E0511000 80050041
	s_add_u32 m0, 0x200, s49                                   // 00000000A624: 807C31FF 00000200
	v_mfma_i32_16x16x32_i8 v[96:99], a[150:151], a[102:103], v[96:99]// 00000000A62C: D3D70060 1D82CD96
	v_mfma_i32_16x16x32_i8 v[100:103], a[144:145], a[104:105], v[100:103]// 00000000A634: D3D70064 1D92D190
	buffer_load_dword v66, s[20:23], 0 offen lds               // 00000000A63C: E0511000 80050042
	s_add_u32 m0, 0x300, s49                                   // 00000000A644: 807C31FF 00000300
	v_mfma_i32_16x16x32_i8 v[100:103], a[146:147], a[106:107], v[100:103]// 00000000A64C: D3D70064 1D92D592
	v_mfma_i32_16x16x32_i8 v[100:103], a[148:149], a[108:109], v[100:103]// 00000000A654: D3D70064 1D92D994
	buffer_load_dword v67, s[20:23], 0 offen lds               // 00000000A65C: E0511000 80050043
	s_add_u32 m0, 0x400, s49                                   // 00000000A664: 807C31FF 00000400
	v_mfma_i32_16x16x32_i8 v[100:103], a[150:151], a[110:111], v[100:103]// 00000000A66C: D3D70064 1D92DD96
	v_mfma_i32_16x16x32_i8 v[104:107], a[144:145], a[112:113], v[104:107]// 00000000A674: D3D70068 1DA2E190
	buffer_load_dword v68, s[20:23], 0 offen lds               // 00000000A67C: E0511000 80050044
	s_add_u32 m0, 0x500, s49                                   // 00000000A684: 807C31FF 00000500
	v_mfma_i32_16x16x32_i8 v[104:107], a[146:147], a[114:115], v[104:107]// 00000000A68C: D3D70068 1DA2E592
	v_mfma_i32_16x16x32_i8 v[104:107], a[148:149], a[116:117], v[104:107]// 00000000A694: D3D70068 1DA2E994
	buffer_load_dword v69, s[20:23], 0 offen lds               // 00000000A69C: E0511000 80050045
	s_add_u32 m0, 0x600, s49                                   // 00000000A6A4: 807C31FF 00000600
	v_mfma_i32_16x16x32_i8 v[104:107], a[150:151], a[118:119], v[104:107]// 00000000A6AC: D3D70068 1DA2ED96
	v_mfma_i32_16x16x32_i8 v[108:111], a[144:145], a[120:121], v[108:111]// 00000000A6B4: D3D7006C 1DB2F190
	buffer_load_dword v70, s[20:23], 0 offen lds               // 00000000A6BC: E0511000 80050046
	s_add_u32 m0, 0x700, s49                                   // 00000000A6C4: 807C31FF 00000700
	v_mfma_i32_16x16x32_i8 v[108:111], a[146:147], a[122:123], v[108:111]// 00000000A6CC: D3D7006C 1DB2F592
	v_mfma_i32_16x16x32_i8 v[108:111], a[148:149], a[124:125], v[108:111]// 00000000A6D4: D3D7006C 1DB2F994
	buffer_load_dword v71, s[20:23], 0 offen lds               // 00000000A6DC: E0511000 80050047
	s_add_u32 m0, 0x800, s49                                   // 00000000A6E4: 807C31FF 00000800
	v_mfma_i32_16x16x32_i8 v[108:111], a[150:151], a[126:127], v[108:111]// 00000000A6EC: D3D7006C 1DB2FD96
	v_mfma_i32_16x16x32_i8 v[112:115], a[144:145], a[128:129], v[112:115]// 00000000A6F4: D3D70070 1DC30190
	buffer_load_dword v72, s[20:23], 0 offen lds               // 00000000A6FC: E0511000 80050048
	s_add_u32 m0, 0x900, s49                                   // 00000000A704: 807C31FF 00000900
	v_mfma_i32_16x16x32_i8 v[112:115], a[146:147], a[130:131], v[112:115]// 00000000A70C: D3D70070 1DC30592
	v_mfma_i32_16x16x32_i8 v[112:115], a[148:149], a[132:133], v[112:115]// 00000000A714: D3D70070 1DC30994
	buffer_load_dword v73, s[20:23], 0 offen lds               // 00000000A71C: E0511000 80050049
	s_add_u32 m0, 0xa00, s49                                   // 00000000A724: 807C31FF 00000A00
	v_mfma_i32_16x16x32_i8 v[112:115], a[150:151], a[134:135], v[112:115]// 00000000A72C: D3D70070 1DC30D96
	v_mfma_i32_16x16x32_i8 v[116:119], a[144:145], a[136:137], v[116:119]// 00000000A734: D3D70074 1DD31190
	buffer_load_dword v74, s[20:23], 0 offen lds               // 00000000A73C: E0511000 8005004A
	s_add_u32 m0, 0xb00, s49                                   // 00000000A744: 807C31FF 00000B00
	v_mfma_i32_16x16x32_i8 v[116:119], a[146:147], a[138:139], v[116:119]// 00000000A74C: D3D70074 1DD31592
	v_mfma_i32_16x16x32_i8 v[116:119], a[148:149], a[140:141], v[116:119]// 00000000A754: D3D70074 1DD31994
	buffer_load_dword v75, s[20:23], 0 offen lds               // 00000000A75C: E0511000 8005004B
	s_add_u32 m0, 0xc00, s49                                   // 00000000A764: 807C31FF 00000C00
	v_mfma_i32_16x16x32_i8 v[116:119], a[150:151], a[142:143], v[116:119]// 00000000A76C: D3D70074 1DD31D96
	s_waitcnt vmcnt(16)                                        // 00000000A774: BF8C4F70
	v_mfma_i32_16x16x32_i8 v[120:123], a[152:153], a[72:73], v[120:123]// 00000000A778: D3D70078 1DE29198
	buffer_load_dword v76, s[20:23], 0 offen lds               // 00000000A780: E0511000 8005004C
	s_add_u32 m0, 0xd00, s49                                   // 00000000A788: 807C31FF 00000D00
	v_mfma_i32_16x16x32_i8 v[120:123], a[154:155], a[74:75], v[120:123]// 00000000A790: D3D70078 1DE2959A
	v_mfma_i32_16x16x32_i8 v[120:123], a[156:157], a[76:77], v[120:123]// 00000000A798: D3D70078 1DE2999C
	buffer_load_dword v77, s[20:23], 0 offen lds               // 00000000A7A0: E0511000 8005004D
	s_add_u32 m0, 0xe00, s49                                   // 00000000A7A8: 807C31FF 00000E00
	v_mfma_i32_16x16x32_i8 v[120:123], a[158:159], a[78:79], v[120:123]// 00000000A7B0: D3D70078 1DE29D9E
	v_mfma_i32_16x16x32_i8 v[124:127], a[152:153], a[80:81], v[124:127]// 00000000A7B8: D3D7007C 1DF2A198
	buffer_load_dword v78, s[20:23], 0 offen lds               // 00000000A7C0: E0511000 8005004E
	s_add_u32 m0, 0xf00, s49                                   // 00000000A7C8: 807C31FF 00000F00
	v_mfma_i32_16x16x32_i8 v[124:127], a[154:155], a[82:83], v[124:127]// 00000000A7D0: D3D7007C 1DF2A59A
	v_mfma_i32_16x16x32_i8 v[124:127], a[156:157], a[84:85], v[124:127]// 00000000A7D8: D3D7007C 1DF2A99C
	buffer_load_dword v79, s[20:23], 0 offen lds               // 00000000A7E0: E0511000 8005004F
	s_add_u32 m0, 0x1000, s49                                  // 00000000A7E8: 807C31FF 00001000
	v_mfma_i32_16x16x32_i8 v[124:127], a[158:159], a[86:87], v[124:127]// 00000000A7F0: D3D7007C 1DF2AD9E
	v_mfma_i32_16x16x32_i8 v[128:131], a[152:153], a[88:89], v[128:131]// 00000000A7F8: D3D70080 1E02B198
	buffer_load_dword v80, s[20:23], 0 offen lds               // 00000000A800: E0511000 80050050
	s_add_u32 m0, 0x1100, s49                                  // 00000000A808: 807C31FF 00001100
	v_mfma_i32_16x16x32_i8 v[128:131], a[154:155], a[90:91], v[128:131]// 00000000A810: D3D70080 1E02B59A
	v_mfma_i32_16x16x32_i8 v[128:131], a[156:157], a[92:93], v[128:131]// 00000000A818: D3D70080 1E02B99C
	buffer_load_dword v81, s[20:23], 0 offen lds               // 00000000A820: E0511000 80050051
	s_add_u32 m0, 0, s48                                       // 00000000A828: 807C3080
	v_mfma_i32_16x16x32_i8 v[128:131], a[158:159], a[94:95], v[128:131]// 00000000A82C: D3D70080 1E02BD9E
	v_mfma_i32_16x16x32_i8 v[132:135], a[152:153], a[96:97], v[132:135]// 00000000A834: D3D70084 1E12C198
	v_mfma_i32_16x16x32_i8 v[132:135], a[154:155], a[98:99], v[132:135]// 00000000A83C: D3D70084 1E12C59A
	v_mfma_i32_16x16x32_i8 v[132:135], a[156:157], a[100:101], v[132:135]// 00000000A844: D3D70084 1E12C99C
	v_mfma_i32_16x16x32_i8 v[132:135], a[158:159], a[102:103], v[132:135]// 00000000A84C: D3D70084 1E12CD9E
	v_mfma_i32_16x16x32_i8 v[136:139], a[152:153], a[104:105], v[136:139]// 00000000A854: D3D70088 1E22D198
	v_mfma_i32_16x16x32_i8 v[136:139], a[154:155], a[106:107], v[136:139]// 00000000A85C: D3D70088 1E22D59A
	v_mfma_i32_16x16x32_i8 v[136:139], a[156:157], a[108:109], v[136:139]// 00000000A864: D3D70088 1E22D99C
	v_mfma_i32_16x16x32_i8 v[136:139], a[158:159], a[110:111], v[136:139]// 00000000A86C: D3D70088 1E22DD9E
	v_mfma_i32_16x16x32_i8 v[140:143], a[152:153], a[112:113], v[140:143]// 00000000A874: D3D7008C 1E32E198
	v_mfma_i32_16x16x32_i8 v[140:143], a[154:155], a[114:115], v[140:143]// 00000000A87C: D3D7008C 1E32E59A
	v_mfma_i32_16x16x32_i8 v[140:143], a[156:157], a[116:117], v[140:143]// 00000000A884: D3D7008C 1E32E99C
	v_mfma_i32_16x16x32_i8 v[140:143], a[158:159], a[118:119], v[140:143]// 00000000A88C: D3D7008C 1E32ED9E
	v_mfma_i32_16x16x32_i8 v[144:147], a[152:153], a[120:121], v[144:147]// 00000000A894: D3D70090 1E42F198
	v_mfma_i32_16x16x32_i8 v[144:147], a[154:155], a[122:123], v[144:147]// 00000000A89C: D3D70090 1E42F59A
	v_mfma_i32_16x16x32_i8 v[144:147], a[156:157], a[124:125], v[144:147]// 00000000A8A4: D3D70090 1E42F99C
	v_mfma_i32_16x16x32_i8 v[144:147], a[158:159], a[126:127], v[144:147]// 00000000A8AC: D3D70090 1E42FD9E
	v_mfma_i32_16x16x32_i8 v[148:151], a[152:153], a[128:129], v[148:151]// 00000000A8B4: D3D70094 1E530198
	v_mfma_i32_16x16x32_i8 v[148:151], a[154:155], a[130:131], v[148:151]// 00000000A8BC: D3D70094 1E53059A
	v_mfma_i32_16x16x32_i8 v[148:151], a[156:157], a[132:133], v[148:151]// 00000000A8C4: D3D70094 1E53099C
	v_mfma_i32_16x16x32_i8 v[148:151], a[158:159], a[134:135], v[148:151]// 00000000A8CC: D3D70094 1E530D9E
	v_mfma_i32_16x16x32_i8 v[152:155], a[152:153], a[136:137], v[152:155]// 00000000A8D4: D3D70098 1E631198
	v_mfma_i32_16x16x32_i8 v[152:155], a[154:155], a[138:139], v[152:155]// 00000000A8DC: D3D70098 1E63159A
	s_add_u32 s60, 0x80, s80                                   // 00000000A8E4: 803C50FF 00000080
	s_cmp_lt_u32 s60, s81                                      // 00000000A8EC: BF0A513C
	s_cselect_b32 s83, s83, 0                                  // 00000000A8F0: 85538053
	v_mfma_i32_16x16x32_i8 v[152:155], a[156:157], a[140:141], v[152:155]// 00000000A8F4: D3D70098 1E63199C
	v_mfma_i32_16x16x32_i8 v[152:155], a[158:159], a[142:143], v[152:155]// 00000000A8FC: D3D70098 1E631D9E
	s_waitcnt vmcnt(18)                                        // 00000000A904: BF8C4F72
	v_mfma_i32_16x16x32_i8 v[156:159], a[160:161], a[72:73], v[156:159]// 00000000A908: D3D7009C 1E7291A0
	buffer_load_dwordx4 a[144:147], v82, s[24:27], 0 offen     // 00000000A910: E05C1000 80869052
	v_mfma_i32_16x16x32_i8 v[156:159], a[162:163], a[74:75], v[156:159]// 00000000A918: D3D7009C 1E7295A2
	v_mfma_i32_16x16x32_i8 v[156:159], a[164:165], a[76:77], v[156:159]// 00000000A920: D3D7009C 1E7299A4
	ds_read_b128 a[0:3], v2                                    // 00000000A928: DBFE0000 00000002
	ds_read_b128 a[4:7], v2 offset:64                          // 00000000A930: DBFE0040 04000002
	v_mfma_i32_16x16x32_i8 v[156:159], a[166:167], a[78:79], v[156:159]// 00000000A938: D3D7009C 1E729DA6
	v_mfma_i32_16x16x32_i8 v[192:195], a[168:169], a[72:73], v[192:195]// 00000000A940: D3D700C0 1F0291A8
	buffer_load_dwordx4 a[148:151], v82, s[24:27], 0 offen offset:1024// 00000000A948: E05C1400 80869452
	v_mfma_i32_16x16x32_i8 v[192:195], a[170:171], a[74:75], v[192:195]// 00000000A950: D3D700C0 1F0295AA
	v_mfma_i32_16x16x32_i8 v[192:195], a[172:173], a[76:77], v[192:195]// 00000000A958: D3D700C0 1F0299AC
	ds_read_b128 a[8:11], v2 offset:512                        // 00000000A960: DBFE0200 08000002
	ds_read_b128 a[12:15], v2 offset:576                       // 00000000A968: DBFE0240 0C000002
	v_mfma_i32_16x16x32_i8 v[192:195], a[174:175], a[78:79], v[192:195]// 00000000A970: D3D700C0 1F029DAE
	v_mfma_i32_16x16x32_i8 v[160:163], a[160:161], a[80:81], v[160:163]// 00000000A978: D3D700A0 1E82A1A0
	buffer_load_dwordx4 a[152:155], v83, s[24:27], 0 offen     // 00000000A980: E05C1000 80869853
	v_mfma_i32_16x16x32_i8 v[160:163], a[162:163], a[82:83], v[160:163]// 00000000A988: D3D700A0 1E82A5A2
	v_mfma_i32_16x16x32_i8 v[160:163], a[164:165], a[84:85], v[160:163]// 00000000A990: D3D700A0 1E82A9A4
	ds_read_b128 a[16:19], v2 offset:1024                      // 00000000A998: DBFE0400 10000002
	ds_read_b128 a[20:23], v2 offset:1088                      // 00000000A9A0: DBFE0440 14000002
	v_mfma_i32_16x16x32_i8 v[160:163], a[166:167], a[86:87], v[160:163]// 00000000A9A8: D3D700A0 1E82ADA6
	v_mfma_i32_16x16x32_i8 v[196:199], a[168:169], a[80:81], v[196:199]// 00000000A9B0: D3D700C4 1F12A1A8
	buffer_load_dwordx4 a[156:159], v83, s[24:27], 0 offen offset:1024// 00000000A9B8: E05C1400 80869C53
	v_mfma_i32_16x16x32_i8 v[196:199], a[170:171], a[82:83], v[196:199]// 00000000A9C0: D3D700C4 1F12A5AA
	v_mfma_i32_16x16x32_i8 v[196:199], a[172:173], a[84:85], v[196:199]// 00000000A9C8: D3D700C4 1F12A9AC
	ds_read_b128 a[24:27], v2 offset:1536                      // 00000000A9D0: DBFE0600 18000002
	ds_read_b128 a[28:31], v2 offset:1600                      // 00000000A9D8: DBFE0640 1C000002
	v_mfma_i32_16x16x32_i8 v[196:199], a[174:175], a[86:87], v[196:199]// 00000000A9E0: D3D700C4 1F12ADAE
	v_mfma_i32_16x16x32_i8 v[164:167], a[160:161], a[88:89], v[164:167]// 00000000A9E8: D3D700A4 1E92B1A0
	v_mfma_i32_16x16x32_i8 v[164:167], a[162:163], a[90:91], v[164:167]// 00000000A9F0: D3D700A4 1E92B5A2
	v_mfma_i32_16x16x32_i8 v[164:167], a[164:165], a[92:93], v[164:167]// 00000000A9F8: D3D700A4 1E92B9A4
	ds_read_b128 a[32:35], v2 offset:2048                      // 00000000AA00: DBFE0800 20000002
	ds_read_b128 a[36:39], v2 offset:2112                      // 00000000AA08: DBFE0840 24000002
	v_mfma_i32_16x16x32_i8 v[164:167], a[166:167], a[94:95], v[164:167]// 00000000AA10: D3D700A4 1E92BDA6
	v_mfma_i32_16x16x32_i8 v[200:203], a[168:169], a[88:89], v[200:203]// 00000000AA18: D3D700C8 1F22B1A8
	v_mfma_i32_16x16x32_i8 v[200:203], a[170:171], a[90:91], v[200:203]// 00000000AA20: D3D700C8 1F22B5AA
	v_mfma_i32_16x16x32_i8 v[200:203], a[172:173], a[92:93], v[200:203]// 00000000AA28: D3D700C8 1F22B9AC
	ds_read_b128 a[40:43], v2 offset:2560                      // 00000000AA30: DBFE0A00 28000002
	ds_read_b128 a[44:47], v2 offset:2624                      // 00000000AA38: DBFE0A40 2C000002
	v_mfma_i32_16x16x32_i8 v[200:203], a[174:175], a[94:95], v[200:203]// 00000000AA40: D3D700C8 1F22BDAE
	v_mfma_i32_16x16x32_i8 v[168:171], a[160:161], a[96:97], v[168:171]// 00000000AA48: D3D700A8 1EA2C1A0
	v_mfma_i32_16x16x32_i8 v[168:171], a[162:163], a[98:99], v[168:171]// 00000000AA50: D3D700A8 1EA2C5A2
	v_mfma_i32_16x16x32_i8 v[168:171], a[164:165], a[100:101], v[168:171]// 00000000AA58: D3D700A8 1EA2C9A4
	ds_read_b128 a[48:51], v2 offset:3072                      // 00000000AA60: DBFE0C00 30000002
	ds_read_b128 a[52:55], v2 offset:3136                      // 00000000AA68: DBFE0C40 34000002
	v_mfma_i32_16x16x32_i8 v[168:171], a[166:167], a[102:103], v[168:171]// 00000000AA70: D3D700A8 1EA2CDA6
	v_mfma_i32_16x16x32_i8 v[204:207], a[168:169], a[96:97], v[204:207]// 00000000AA78: D3D700CC 1F32C1A8
	v_mfma_i32_16x16x32_i8 v[204:207], a[170:171], a[98:99], v[204:207]// 00000000AA80: D3D700CC 1F32C5AA
	v_mfma_i32_16x16x32_i8 v[204:207], a[172:173], a[100:101], v[204:207]// 00000000AA88: D3D700CC 1F32C9AC
	ds_read_b128 a[56:59], v2 offset:3584                      // 00000000AA90: DBFE0E00 38000002
	ds_read_b128 a[60:63], v2 offset:3648                      // 00000000AA98: DBFE0E40 3C000002
	v_mfma_i32_16x16x32_i8 v[204:207], a[174:175], a[102:103], v[204:207]// 00000000AAA0: D3D700CC 1F32CDAE
	v_mfma_i32_16x16x32_i8 v[172:175], a[160:161], a[104:105], v[172:175]// 00000000AAA8: D3D700AC 1EB2D1A0
	v_mfma_i32_16x16x32_i8 v[172:175], a[162:163], a[106:107], v[172:175]// 00000000AAB0: D3D700AC 1EB2D5A2
	v_mfma_i32_16x16x32_i8 v[172:175], a[164:165], a[108:109], v[172:175]// 00000000AAB8: D3D700AC 1EB2D9A4
	ds_read_b128 a[64:67], v2 offset:4096                      // 00000000AAC0: DBFE1000 40000002
	ds_read_b128 a[68:71], v2 offset:4160                      // 00000000AAC8: DBFE1040 44000002
	v_mfma_i32_16x16x32_i8 v[172:175], a[166:167], a[110:111], v[172:175]// 00000000AAD0: D3D700AC 1EB2DDA6
	v_mfma_i32_16x16x32_i8 v[208:211], a[168:169], a[104:105], v[208:211]// 00000000AAD8: D3D700D0 1F42D1A8
	v_mfma_i32_16x16x32_i8 v[208:211], a[170:171], a[106:107], v[208:211]// 00000000AAE0: D3D700D0 1F42D5AA
	v_mfma_i32_16x16x32_i8 v[208:211], a[172:173], a[108:109], v[208:211]// 00000000AAE8: D3D700D0 1F42D9AC
	v_mfma_i32_16x16x32_i8 v[208:211], a[174:175], a[110:111], v[208:211]// 00000000AAF0: D3D700D0 1F42DDAE
	v_mfma_i32_16x16x32_i8 v[176:179], a[160:161], a[112:113], v[176:179]// 00000000AAF8: D3D700B0 1EC2E1A0
	v_mfma_i32_16x16x32_i8 v[176:179], a[162:163], a[114:115], v[176:179]// 00000000AB00: D3D700B0 1EC2E5A2
	v_mfma_i32_16x16x32_i8 v[176:179], a[164:165], a[116:117], v[176:179]// 00000000AB08: D3D700B0 1EC2E9A4
	v_mfma_i32_16x16x32_i8 v[176:179], a[166:167], a[118:119], v[176:179]// 00000000AB10: D3D700B0 1EC2EDA6
	v_mfma_i32_16x16x32_i8 v[212:215], a[168:169], a[112:113], v[212:215]// 00000000AB18: D3D700D4 1F52E1A8
	v_mfma_i32_16x16x32_i8 v[212:215], a[170:171], a[114:115], v[212:215]// 00000000AB20: D3D700D4 1F52E5AA
	v_mfma_i32_16x16x32_i8 v[212:215], a[172:173], a[116:117], v[212:215]// 00000000AB28: D3D700D4 1F52E9AC
	v_mfma_i32_16x16x32_i8 v[212:215], a[174:175], a[118:119], v[212:215]// 00000000AB30: D3D700D4 1F52EDAE
	v_mfma_i32_16x16x32_i8 v[180:183], a[160:161], a[120:121], v[180:183]// 00000000AB38: D3D700B4 1ED2F1A0
	v_mfma_i32_16x16x32_i8 v[180:183], a[162:163], a[122:123], v[180:183]// 00000000AB40: D3D700B4 1ED2F5A2
	v_mfma_i32_16x16x32_i8 v[180:183], a[164:165], a[124:125], v[180:183]// 00000000AB48: D3D700B4 1ED2F9A4
	v_mfma_i32_16x16x32_i8 v[180:183], a[166:167], a[126:127], v[180:183]// 00000000AB50: D3D700B4 1ED2FDA6
	v_mfma_i32_16x16x32_i8 v[216:219], a[168:169], a[120:121], v[216:219]// 00000000AB58: D3D700D8 1F62F1A8
	v_mfma_i32_16x16x32_i8 v[216:219], a[170:171], a[122:123], v[216:219]// 00000000AB60: D3D700D8 1F62F5AA
	v_mfma_i32_16x16x32_i8 v[216:219], a[172:173], a[124:125], v[216:219]// 00000000AB68: D3D700D8 1F62F9AC
	v_mfma_i32_16x16x32_i8 v[216:219], a[174:175], a[126:127], v[216:219]// 00000000AB70: D3D700D8 1F62FDAE
	v_mfma_i32_16x16x32_i8 v[184:187], a[160:161], a[128:129], v[184:187]// 00000000AB78: D3D700B8 1EE301A0
	v_mfma_i32_16x16x32_i8 v[184:187], a[162:163], a[130:131], v[184:187]// 00000000AB80: D3D700B8 1EE305A2
	v_mfma_i32_16x16x32_i8 v[184:187], a[164:165], a[132:133], v[184:187]// 00000000AB88: D3D700B8 1EE309A4
	v_mfma_i32_16x16x32_i8 v[184:187], a[166:167], a[134:135], v[184:187]// 00000000AB90: D3D700B8 1EE30DA6
	v_mfma_i32_16x16x32_i8 v[220:223], a[168:169], a[128:129], v[220:223]// 00000000AB98: D3D700DC 1F7301A8
	v_mfma_i32_16x16x32_i8 v[220:223], a[170:171], a[130:131], v[220:223]// 00000000ABA0: D3D700DC 1F7305AA
	v_mfma_i32_16x16x32_i8 v[220:223], a[172:173], a[132:133], v[220:223]// 00000000ABA8: D3D700DC 1F7309AC
	v_mfma_i32_16x16x32_i8 v[220:223], a[174:175], a[134:135], v[220:223]// 00000000ABB0: D3D700DC 1F730DAE
	v_mfma_i32_16x16x32_i8 v[188:191], a[160:161], a[136:137], v[188:191]// 00000000ABB8: D3D700BC 1EF311A0
	v_mfma_i32_16x16x32_i8 v[188:191], a[162:163], a[138:139], v[188:191]// 00000000ABC0: D3D700BC 1EF315A2
	v_mfma_i32_16x16x32_i8 v[188:191], a[164:165], a[140:141], v[188:191]// 00000000ABC8: D3D700BC 1EF319A4
	s_add_u32 s60, 0x180, s80                                  // 00000000ABD0: 803C50FF 00000180
	s_cmp_lt_u32 s60, s81                                      // 00000000ABD8: BF0A513C
	s_cselect_b32 s57, s57, 0                                  // 00000000ABDC: 85398039
	v_mfma_i32_16x16x32_i8 v[188:191], a[166:167], a[142:143], v[188:191]// 00000000ABE0: D3D700BC 1EF31DA6
	s_add_u32 s60, 0x100, s80                                  // 00000000ABE8: 803C50FF 00000100
	s_cmp_lt_u32 s60, s81                                      // 00000000ABF0: BF0A513C
	s_cselect_b32 s58, s58, 0                                  // 00000000ABF4: 853A803A
	v_mfma_i32_16x16x32_i8 v[224:227], a[168:169], a[136:137], v[224:227]// 00000000ABF8: D3D700E0 1F8311A8
	s_add_u32 s24, s58, s24                                    // 00000000AC00: 8018183A
	s_addc_u32 s25, 0, s25                                     // 00000000AC04: 82191980
	v_mfma_i32_16x16x32_i8 v[224:227], a[170:171], a[138:139], v[224:227]// 00000000AC08: D3D700E0 1F8315AA
	s_add_u32 s20, s57, s20                                    // 00000000AC10: 80141439
	s_addc_u32 s21, 0, s21                                     // 00000000AC14: 82151580
	v_mfma_i32_16x16x32_i8 v[224:227], a[172:173], a[140:141], v[224:227]// 00000000AC18: D3D700E0 1F8319AC
	s_add_u32 s84, s83, s84                                    // 00000000AC20: 80545453
	s_addc_u32 s85, 0, s85                                     // 00000000AC24: 82555580
	v_mfma_i32_16x16x32_i8 v[224:227], a[174:175], a[142:143], v[224:227]// 00000000AC28: D3D700E0 1F831DAE
	s_addk_i32 s80, 0x80                                       // 00000000AC30: B7500080
	s_cmp_lt_i32 s80, s81                                      // 00000000AC34: BF045150
	s_cbranch_scc0 label_2093                                  // 00000000AC38: BF840001
	s_branch label_1D2A                                        // 00000000AC3C: BF82FC97

000000000000ac40 <label_2093>:
	v_cvt_f32_i32_e32 v84, v84                                 // 00000000AC40: 7EA80B54
	v_cvt_f32_i32_e32 v85, v85                                 // 00000000AC44: 7EAA0B55
	v_cvt_f32_i32_e32 v86, v86                                 // 00000000AC48: 7EAC0B56
	v_cvt_f32_i32_e32 v87, v87                                 // 00000000AC4C: 7EAE0B57
	v_mul_f32_dpp v84, v24, v84 row_newbcast:0 row_mask:0xf bank_mask:0xf// 00000000AC50: 0AA8A8FA FF015018
	v_mul_f32_dpp v85, v24, v85 row_newbcast:1 row_mask:0xf bank_mask:0xf// 00000000AC58: 0AAAAAFA FF015118
	v_mul_f32_dpp v86, v24, v86 row_newbcast:2 row_mask:0xf bank_mask:0xf// 00000000AC60: 0AACACFA FF015218
	v_mul_f32_dpp v87, v24, v87 row_newbcast:3 row_mask:0xf bank_mask:0xf// 00000000AC68: 0AAEAEFA FF015318
	v_cvt_f32_i32_e32 v88, v88                                 // 00000000AC70: 7EB00B58
	v_cvt_f32_i32_e32 v89, v89                                 // 00000000AC74: 7EB20B59
	v_cvt_f32_i32_e32 v90, v90                                 // 00000000AC78: 7EB40B5A
	v_cvt_f32_i32_e32 v91, v91                                 // 00000000AC7C: 7EB60B5B
	v_mul_f32_dpp v88, v24, v88 row_newbcast:0 row_mask:0xf bank_mask:0xf// 00000000AC80: 0AB0B0FA FF015018
	v_mul_f32_dpp v89, v24, v89 row_newbcast:1 row_mask:0xf bank_mask:0xf// 00000000AC88: 0AB2B2FA FF015118
	v_mul_f32_dpp v90, v24, v90 row_newbcast:2 row_mask:0xf bank_mask:0xf// 00000000AC90: 0AB4B4FA FF015218
	v_mul_f32_dpp v91, v24, v91 row_newbcast:3 row_mask:0xf bank_mask:0xf// 00000000AC98: 0AB6B6FA FF015318
	v_cvt_f32_i32_e32 v92, v92                                 // 00000000ACA0: 7EB80B5C
	v_cvt_f32_i32_e32 v93, v93                                 // 00000000ACA4: 7EBA0B5D
	v_cvt_f32_i32_e32 v94, v94                                 // 00000000ACA8: 7EBC0B5E
	v_cvt_f32_i32_e32 v95, v95                                 // 00000000ACAC: 7EBE0B5F
	v_mul_f32_dpp v92, v24, v92 row_newbcast:0 row_mask:0xf bank_mask:0xf// 00000000ACB0: 0AB8B8FA FF015018
	v_mul_f32_dpp v93, v24, v93 row_newbcast:1 row_mask:0xf bank_mask:0xf// 00000000ACB8: 0ABABAFA FF015118
	v_mul_f32_dpp v94, v24, v94 row_newbcast:2 row_mask:0xf bank_mask:0xf// 00000000ACC0: 0ABCBCFA FF015218
	v_mul_f32_dpp v95, v24, v95 row_newbcast:3 row_mask:0xf bank_mask:0xf// 00000000ACC8: 0ABEBEFA FF015318
	v_cvt_f32_i32_e32 v96, v96                                 // 00000000ACD0: 7EC00B60
	v_cvt_f32_i32_e32 v97, v97                                 // 00000000ACD4: 7EC20B61
	v_cvt_f32_i32_e32 v98, v98                                 // 00000000ACD8: 7EC40B62
	v_cvt_f32_i32_e32 v99, v99                                 // 00000000ACDC: 7EC60B63
	v_mul_f32_dpp v96, v24, v96 row_newbcast:0 row_mask:0xf bank_mask:0xf// 00000000ACE0: 0AC0C0FA FF015018
	v_mul_f32_dpp v97, v24, v97 row_newbcast:1 row_mask:0xf bank_mask:0xf// 00000000ACE8: 0AC2C2FA FF015118
	v_mul_f32_dpp v98, v24, v98 row_newbcast:2 row_mask:0xf bank_mask:0xf// 00000000ACF0: 0AC4C4FA FF015218
	v_mul_f32_dpp v99, v24, v99 row_newbcast:3 row_mask:0xf bank_mask:0xf// 00000000ACF8: 0AC6C6FA FF015318
	v_cvt_f32_i32_e32 v100, v100                               // 00000000AD00: 7EC80B64
	v_cvt_f32_i32_e32 v101, v101                               // 00000000AD04: 7ECA0B65
	v_cvt_f32_i32_e32 v102, v102                               // 00000000AD08: 7ECC0B66
	v_cvt_f32_i32_e32 v103, v103                               // 00000000AD0C: 7ECE0B67
	v_mul_f32_dpp v100, v24, v100 row_newbcast:0 row_mask:0xf bank_mask:0xf// 00000000AD10: 0AC8C8FA FF015018
	v_mul_f32_dpp v101, v24, v101 row_newbcast:1 row_mask:0xf bank_mask:0xf// 00000000AD18: 0ACACAFA FF015118
	v_mul_f32_dpp v102, v24, v102 row_newbcast:2 row_mask:0xf bank_mask:0xf// 00000000AD20: 0ACCCCFA FF015218
	v_mul_f32_dpp v103, v24, v103 row_newbcast:3 row_mask:0xf bank_mask:0xf// 00000000AD28: 0ACECEFA FF015318
	v_cvt_f32_i32_e32 v104, v104                               // 00000000AD30: 7ED00B68
	v_cvt_f32_i32_e32 v105, v105                               // 00000000AD34: 7ED20B69
	v_cvt_f32_i32_e32 v106, v106                               // 00000000AD38: 7ED40B6A
	v_cvt_f32_i32_e32 v107, v107                               // 00000000AD3C: 7ED60B6B
	v_mul_f32_dpp v104, v24, v104 row_newbcast:0 row_mask:0xf bank_mask:0xf// 00000000AD40: 0AD0D0FA FF015018
	v_mul_f32_dpp v105, v24, v105 row_newbcast:1 row_mask:0xf bank_mask:0xf// 00000000AD48: 0AD2D2FA FF015118
	v_mul_f32_dpp v106, v24, v106 row_newbcast:2 row_mask:0xf bank_mask:0xf// 00000000AD50: 0AD4D4FA FF015218
	v_mul_f32_dpp v107, v24, v107 row_newbcast:3 row_mask:0xf bank_mask:0xf// 00000000AD58: 0AD6D6FA FF015318
	v_cvt_f32_i32_e32 v108, v108                               // 00000000AD60: 7ED80B6C
	v_cvt_f32_i32_e32 v109, v109                               // 00000000AD64: 7EDA0B6D
	v_cvt_f32_i32_e32 v110, v110                               // 00000000AD68: 7EDC0B6E
	v_cvt_f32_i32_e32 v111, v111                               // 00000000AD6C: 7EDE0B6F
	v_mul_f32_dpp v108, v24, v108 row_newbcast:0 row_mask:0xf bank_mask:0xf// 00000000AD70: 0AD8D8FA FF015018
	v_mul_f32_dpp v109, v24, v109 row_newbcast:1 row_mask:0xf bank_mask:0xf// 00000000AD78: 0ADADAFA FF015118
	v_mul_f32_dpp v110, v24, v110 row_newbcast:2 row_mask:0xf bank_mask:0xf// 00000000AD80: 0ADCDCFA FF015218
	v_mul_f32_dpp v111, v24, v111 row_newbcast:3 row_mask:0xf bank_mask:0xf// 00000000AD88: 0ADEDEFA FF015318
	v_cvt_f32_i32_e32 v112, v112                               // 00000000AD90: 7EE00B70
	v_cvt_f32_i32_e32 v113, v113                               // 00000000AD94: 7EE20B71
	v_cvt_f32_i32_e32 v114, v114                               // 00000000AD98: 7EE40B72
	v_cvt_f32_i32_e32 v115, v115                               // 00000000AD9C: 7EE60B73
	v_mul_f32_dpp v112, v24, v112 row_newbcast:0 row_mask:0xf bank_mask:0xf// 00000000ADA0: 0AE0E0FA FF015018
	v_mul_f32_dpp v113, v24, v113 row_newbcast:1 row_mask:0xf bank_mask:0xf// 00000000ADA8: 0AE2E2FA FF015118
	v_mul_f32_dpp v114, v24, v114 row_newbcast:2 row_mask:0xf bank_mask:0xf// 00000000ADB0: 0AE4E4FA FF015218
	v_mul_f32_dpp v115, v24, v115 row_newbcast:3 row_mask:0xf bank_mask:0xf// 00000000ADB8: 0AE6E6FA FF015318
	v_cvt_f32_i32_e32 v116, v116                               // 00000000ADC0: 7EE80B74
	v_cvt_f32_i32_e32 v117, v117                               // 00000000ADC4: 7EEA0B75
	v_cvt_f32_i32_e32 v118, v118                               // 00000000ADC8: 7EEC0B76
	v_cvt_f32_i32_e32 v119, v119                               // 00000000ADCC: 7EEE0B77
	v_mul_f32_dpp v116, v24, v116 row_newbcast:0 row_mask:0xf bank_mask:0xf// 00000000ADD0: 0AE8E8FA FF015018
	v_mul_f32_dpp v117, v24, v117 row_newbcast:1 row_mask:0xf bank_mask:0xf// 00000000ADD8: 0AEAEAFA FF015118
	v_mul_f32_dpp v118, v24, v118 row_newbcast:2 row_mask:0xf bank_mask:0xf// 00000000ADE0: 0AECECFA FF015218
	v_mul_f32_dpp v119, v24, v119 row_newbcast:3 row_mask:0xf bank_mask:0xf// 00000000ADE8: 0AEEEEFA FF015318
	v_cvt_f32_i32_e32 v120, v120                               // 00000000ADF0: 7EF00B78
	v_cvt_f32_i32_e32 v121, v121                               // 00000000ADF4: 7EF20B79
	v_cvt_f32_i32_e32 v122, v122                               // 00000000ADF8: 7EF40B7A
	v_cvt_f32_i32_e32 v123, v123                               // 00000000ADFC: 7EF60B7B
	v_mul_f32_dpp v120, v24, v120 row_newbcast:4 row_mask:0xf bank_mask:0xf// 00000000AE00: 0AF0F0FA FF015418
	v_mul_f32_dpp v121, v24, v121 row_newbcast:5 row_mask:0xf bank_mask:0xf// 00000000AE08: 0AF2F2FA FF015518
	v_mul_f32_dpp v122, v24, v122 row_newbcast:6 row_mask:0xf bank_mask:0xf// 00000000AE10: 0AF4F4FA FF015618
	v_mul_f32_dpp v123, v24, v123 row_newbcast:7 row_mask:0xf bank_mask:0xf// 00000000AE18: 0AF6F6FA FF015718
	v_cvt_f32_i32_e32 v124, v124                               // 00000000AE20: 7EF80B7C
	v_cvt_f32_i32_e32 v125, v125                               // 00000000AE24: 7EFA0B7D
	v_cvt_f32_i32_e32 v126, v126                               // 00000000AE28: 7EFC0B7E
	v_cvt_f32_i32_e32 v127, v127                               // 00000000AE2C: 7EFE0B7F
	v_mul_f32_dpp v124, v24, v124 row_newbcast:4 row_mask:0xf bank_mask:0xf// 00000000AE30: 0AF8F8FA FF015418
	v_mul_f32_dpp v125, v24, v125 row_newbcast:5 row_mask:0xf bank_mask:0xf// 00000000AE38: 0AFAFAFA FF015518
	v_mul_f32_dpp v126, v24, v126 row_newbcast:6 row_mask:0xf bank_mask:0xf// 00000000AE40: 0AFCFCFA FF015618
	v_mul_f32_dpp v127, v24, v127 row_newbcast:7 row_mask:0xf bank_mask:0xf// 00000000AE48: 0AFEFEFA FF015718
	v_cvt_f32_i32_e32 v128, v128                               // 00000000AE50: 7F000B80
	v_cvt_f32_i32_e32 v129, v129                               // 00000000AE54: 7F020B81
	v_cvt_f32_i32_e32 v130, v130                               // 00000000AE58: 7F040B82
	v_cvt_f32_i32_e32 v131, v131                               // 00000000AE5C: 7F060B83
	v_mul_f32_dpp v128, v24, v128 row_newbcast:4 row_mask:0xf bank_mask:0xf// 00000000AE60: 0B0100FA FF015418
	v_mul_f32_dpp v129, v24, v129 row_newbcast:5 row_mask:0xf bank_mask:0xf// 00000000AE68: 0B0302FA FF015518
	v_mul_f32_dpp v130, v24, v130 row_newbcast:6 row_mask:0xf bank_mask:0xf// 00000000AE70: 0B0504FA FF015618
	v_mul_f32_dpp v131, v24, v131 row_newbcast:7 row_mask:0xf bank_mask:0xf// 00000000AE78: 0B0706FA FF015718
	v_cvt_f32_i32_e32 v132, v132                               // 00000000AE80: 7F080B84
	v_cvt_f32_i32_e32 v133, v133                               // 00000000AE84: 7F0A0B85
	v_cvt_f32_i32_e32 v134, v134                               // 00000000AE88: 7F0C0B86
	v_cvt_f32_i32_e32 v135, v135                               // 00000000AE8C: 7F0E0B87
	v_mul_f32_dpp v132, v24, v132 row_newbcast:4 row_mask:0xf bank_mask:0xf// 00000000AE90: 0B0908FA FF015418
	v_mul_f32_dpp v133, v24, v133 row_newbcast:5 row_mask:0xf bank_mask:0xf// 00000000AE98: 0B0B0AFA FF015518
	v_mul_f32_dpp v134, v24, v134 row_newbcast:6 row_mask:0xf bank_mask:0xf// 00000000AEA0: 0B0D0CFA FF015618
	v_mul_f32_dpp v135, v24, v135 row_newbcast:7 row_mask:0xf bank_mask:0xf// 00000000AEA8: 0B0F0EFA FF015718
	v_cvt_f32_i32_e32 v136, v136                               // 00000000AEB0: 7F100B88
	v_cvt_f32_i32_e32 v137, v137                               // 00000000AEB4: 7F120B89
	v_cvt_f32_i32_e32 v138, v138                               // 00000000AEB8: 7F140B8A
	v_cvt_f32_i32_e32 v139, v139                               // 00000000AEBC: 7F160B8B
	v_mul_f32_dpp v136, v24, v136 row_newbcast:4 row_mask:0xf bank_mask:0xf// 00000000AEC0: 0B1110FA FF015418
	v_mul_f32_dpp v137, v24, v137 row_newbcast:5 row_mask:0xf bank_mask:0xf// 00000000AEC8: 0B1312FA FF015518
	v_mul_f32_dpp v138, v24, v138 row_newbcast:6 row_mask:0xf bank_mask:0xf// 00000000AED0: 0B1514FA FF015618
	v_mul_f32_dpp v139, v24, v139 row_newbcast:7 row_mask:0xf bank_mask:0xf// 00000000AED8: 0B1716FA FF015718
	v_cvt_f32_i32_e32 v140, v140                               // 00000000AEE0: 7F180B8C
	v_cvt_f32_i32_e32 v141, v141                               // 00000000AEE4: 7F1A0B8D
	v_cvt_f32_i32_e32 v142, v142                               // 00000000AEE8: 7F1C0B8E
	v_cvt_f32_i32_e32 v143, v143                               // 00000000AEEC: 7F1E0B8F
	v_mul_f32_dpp v140, v24, v140 row_newbcast:4 row_mask:0xf bank_mask:0xf// 00000000AEF0: 0B1918FA FF015418
	v_mul_f32_dpp v141, v24, v141 row_newbcast:5 row_mask:0xf bank_mask:0xf// 00000000AEF8: 0B1B1AFA FF015518
	v_mul_f32_dpp v142, v24, v142 row_newbcast:6 row_mask:0xf bank_mask:0xf// 00000000AF00: 0B1D1CFA FF015618
	v_mul_f32_dpp v143, v24, v143 row_newbcast:7 row_mask:0xf bank_mask:0xf// 00000000AF08: 0B1F1EFA FF015718
	v_cvt_f32_i32_e32 v144, v144                               // 00000000AF10: 7F200B90
	v_cvt_f32_i32_e32 v145, v145                               // 00000000AF14: 7F220B91
	v_cvt_f32_i32_e32 v146, v146                               // 00000000AF18: 7F240B92
	v_cvt_f32_i32_e32 v147, v147                               // 00000000AF1C: 7F260B93
	v_mul_f32_dpp v144, v24, v144 row_newbcast:4 row_mask:0xf bank_mask:0xf// 00000000AF20: 0B2120FA FF015418
	v_mul_f32_dpp v145, v24, v145 row_newbcast:5 row_mask:0xf bank_mask:0xf// 00000000AF28: 0B2322FA FF015518
	v_mul_f32_dpp v146, v24, v146 row_newbcast:6 row_mask:0xf bank_mask:0xf// 00000000AF30: 0B2524FA FF015618
	v_mul_f32_dpp v147, v24, v147 row_newbcast:7 row_mask:0xf bank_mask:0xf// 00000000AF38: 0B2726FA FF015718
	v_cvt_f32_i32_e32 v148, v148                               // 00000000AF40: 7F280B94
	v_cvt_f32_i32_e32 v149, v149                               // 00000000AF44: 7F2A0B95
	v_cvt_f32_i32_e32 v150, v150                               // 00000000AF48: 7F2C0B96
	v_cvt_f32_i32_e32 v151, v151                               // 00000000AF4C: 7F2E0B97
	v_mul_f32_dpp v148, v24, v148 row_newbcast:4 row_mask:0xf bank_mask:0xf// 00000000AF50: 0B2928FA FF015418
	v_mul_f32_dpp v149, v24, v149 row_newbcast:5 row_mask:0xf bank_mask:0xf// 00000000AF58: 0B2B2AFA FF015518
	v_mul_f32_dpp v150, v24, v150 row_newbcast:6 row_mask:0xf bank_mask:0xf// 00000000AF60: 0B2D2CFA FF015618
	v_mul_f32_dpp v151, v24, v151 row_newbcast:7 row_mask:0xf bank_mask:0xf// 00000000AF68: 0B2F2EFA FF015718
	v_cvt_f32_i32_e32 v152, v152                               // 00000000AF70: 7F300B98
	v_cvt_f32_i32_e32 v153, v153                               // 00000000AF74: 7F320B99
	v_cvt_f32_i32_e32 v154, v154                               // 00000000AF78: 7F340B9A
	v_cvt_f32_i32_e32 v155, v155                               // 00000000AF7C: 7F360B9B
	v_mul_f32_dpp v152, v24, v152 row_newbcast:4 row_mask:0xf bank_mask:0xf// 00000000AF80: 0B3130FA FF015418
	v_mul_f32_dpp v153, v24, v153 row_newbcast:5 row_mask:0xf bank_mask:0xf// 00000000AF88: 0B3332FA FF015518
	v_mul_f32_dpp v154, v24, v154 row_newbcast:6 row_mask:0xf bank_mask:0xf// 00000000AF90: 0B3534FA FF015618
	v_mul_f32_dpp v155, v24, v155 row_newbcast:7 row_mask:0xf bank_mask:0xf// 00000000AF98: 0B3736FA FF015718
	v_cvt_f32_i32_e32 v156, v156                               // 00000000AFA0: 7F380B9C
	v_cvt_f32_i32_e32 v157, v157                               // 00000000AFA4: 7F3A0B9D
	v_cvt_f32_i32_e32 v158, v158                               // 00000000AFA8: 7F3C0B9E
	v_cvt_f32_i32_e32 v159, v159                               // 00000000AFAC: 7F3E0B9F
	v_mul_f32_dpp v156, v26, v156 row_newbcast:0 row_mask:0xf bank_mask:0xf// 00000000AFB0: 0B3938FA FF01501A
	v_mul_f32_dpp v157, v26, v157 row_newbcast:1 row_mask:0xf bank_mask:0xf// 00000000AFB8: 0B3B3AFA FF01511A
	v_mul_f32_dpp v158, v26, v158 row_newbcast:2 row_mask:0xf bank_mask:0xf// 00000000AFC0: 0B3D3CFA FF01521A
	v_mul_f32_dpp v159, v26, v159 row_newbcast:3 row_mask:0xf bank_mask:0xf// 00000000AFC8: 0B3F3EFA FF01531A
	v_cvt_f32_i32_e32 v160, v160                               // 00000000AFD0: 7F400BA0
	v_cvt_f32_i32_e32 v161, v161                               // 00000000AFD4: 7F420BA1
	v_cvt_f32_i32_e32 v162, v162                               // 00000000AFD8: 7F440BA2
	v_cvt_f32_i32_e32 v163, v163                               // 00000000AFDC: 7F460BA3
	v_mul_f32_dpp v160, v26, v160 row_newbcast:0 row_mask:0xf bank_mask:0xf// 00000000AFE0: 0B4140FA FF01501A
	v_mul_f32_dpp v161, v26, v161 row_newbcast:1 row_mask:0xf bank_mask:0xf// 00000000AFE8: 0B4342FA FF01511A
	v_mul_f32_dpp v162, v26, v162 row_newbcast:2 row_mask:0xf bank_mask:0xf// 00000000AFF0: 0B4544FA FF01521A
	v_mul_f32_dpp v163, v26, v163 row_newbcast:3 row_mask:0xf bank_mask:0xf// 00000000AFF8: 0B4746FA FF01531A
	v_cvt_f32_i32_e32 v164, v164                               // 00000000B000: 7F480BA4
	v_cvt_f32_i32_e32 v165, v165                               // 00000000B004: 7F4A0BA5
	v_cvt_f32_i32_e32 v166, v166                               // 00000000B008: 7F4C0BA6
	v_cvt_f32_i32_e32 v167, v167                               // 00000000B00C: 7F4E0BA7
	v_mul_f32_dpp v164, v26, v164 row_newbcast:0 row_mask:0xf bank_mask:0xf// 00000000B010: 0B4948FA FF01501A
	v_mul_f32_dpp v165, v26, v165 row_newbcast:1 row_mask:0xf bank_mask:0xf// 00000000B018: 0B4B4AFA FF01511A
	v_mul_f32_dpp v166, v26, v166 row_newbcast:2 row_mask:0xf bank_mask:0xf// 00000000B020: 0B4D4CFA FF01521A
	v_mul_f32_dpp v167, v26, v167 row_newbcast:3 row_mask:0xf bank_mask:0xf// 00000000B028: 0B4F4EFA FF01531A
	v_cvt_f32_i32_e32 v168, v168                               // 00000000B030: 7F500BA8
	v_cvt_f32_i32_e32 v169, v169                               // 00000000B034: 7F520BA9
	v_cvt_f32_i32_e32 v170, v170                               // 00000000B038: 7F540BAA
	v_cvt_f32_i32_e32 v171, v171                               // 00000000B03C: 7F560BAB
	v_mul_f32_dpp v168, v26, v168 row_newbcast:0 row_mask:0xf bank_mask:0xf// 00000000B040: 0B5150FA FF01501A
	v_mul_f32_dpp v169, v26, v169 row_newbcast:1 row_mask:0xf bank_mask:0xf// 00000000B048: 0B5352FA FF01511A
	v_mul_f32_dpp v170, v26, v170 row_newbcast:2 row_mask:0xf bank_mask:0xf// 00000000B050: 0B5554FA FF01521A
	v_mul_f32_dpp v171, v26, v171 row_newbcast:3 row_mask:0xf bank_mask:0xf// 00000000B058: 0B5756FA FF01531A
	v_cvt_f32_i32_e32 v172, v172                               // 00000000B060: 7F580BAC
	v_cvt_f32_i32_e32 v173, v173                               // 00000000B064: 7F5A0BAD
	v_cvt_f32_i32_e32 v174, v174                               // 00000000B068: 7F5C0BAE
	v_cvt_f32_i32_e32 v175, v175                               // 00000000B06C: 7F5E0BAF
	v_mul_f32_dpp v172, v26, v172 row_newbcast:0 row_mask:0xf bank_mask:0xf// 00000000B070: 0B5958FA FF01501A
	v_mul_f32_dpp v173, v26, v173 row_newbcast:1 row_mask:0xf bank_mask:0xf// 00000000B078: 0B5B5AFA FF01511A
	v_mul_f32_dpp v174, v26, v174 row_newbcast:2 row_mask:0xf bank_mask:0xf// 00000000B080: 0B5D5CFA FF01521A
	v_mul_f32_dpp v175, v26, v175 row_newbcast:3 row_mask:0xf bank_mask:0xf// 00000000B088: 0B5F5EFA FF01531A
	v_cvt_f32_i32_e32 v176, v176                               // 00000000B090: 7F600BB0
	v_cvt_f32_i32_e32 v177, v177                               // 00000000B094: 7F620BB1
	v_cvt_f32_i32_e32 v178, v178                               // 00000000B098: 7F640BB2
	v_cvt_f32_i32_e32 v179, v179                               // 00000000B09C: 7F660BB3
	v_mul_f32_dpp v176, v26, v176 row_newbcast:0 row_mask:0xf bank_mask:0xf// 00000000B0A0: 0B6160FA FF01501A
	v_mul_f32_dpp v177, v26, v177 row_newbcast:1 row_mask:0xf bank_mask:0xf// 00000000B0A8: 0B6362FA FF01511A
	v_mul_f32_dpp v178, v26, v178 row_newbcast:2 row_mask:0xf bank_mask:0xf// 00000000B0B0: 0B6564FA FF01521A
	v_mul_f32_dpp v179, v26, v179 row_newbcast:3 row_mask:0xf bank_mask:0xf// 00000000B0B8: 0B6766FA FF01531A
	v_cvt_f32_i32_e32 v180, v180                               // 00000000B0C0: 7F680BB4
	v_cvt_f32_i32_e32 v181, v181                               // 00000000B0C4: 7F6A0BB5
	v_cvt_f32_i32_e32 v182, v182                               // 00000000B0C8: 7F6C0BB6
	v_cvt_f32_i32_e32 v183, v183                               // 00000000B0CC: 7F6E0BB7
	v_mul_f32_dpp v180, v26, v180 row_newbcast:0 row_mask:0xf bank_mask:0xf// 00000000B0D0: 0B6968FA FF01501A
	v_mul_f32_dpp v181, v26, v181 row_newbcast:1 row_mask:0xf bank_mask:0xf// 00000000B0D8: 0B6B6AFA FF01511A
	v_mul_f32_dpp v182, v26, v182 row_newbcast:2 row_mask:0xf bank_mask:0xf// 00000000B0E0: 0B6D6CFA FF01521A
	v_mul_f32_dpp v183, v26, v183 row_newbcast:3 row_mask:0xf bank_mask:0xf// 00000000B0E8: 0B6F6EFA FF01531A
	v_cvt_f32_i32_e32 v184, v184                               // 00000000B0F0: 7F700BB8
	v_cvt_f32_i32_e32 v185, v185                               // 00000000B0F4: 7F720BB9
	v_cvt_f32_i32_e32 v186, v186                               // 00000000B0F8: 7F740BBA
	v_cvt_f32_i32_e32 v187, v187                               // 00000000B0FC: 7F760BBB
	v_mul_f32_dpp v184, v26, v184 row_newbcast:0 row_mask:0xf bank_mask:0xf// 00000000B100: 0B7170FA FF01501A
	v_mul_f32_dpp v185, v26, v185 row_newbcast:1 row_mask:0xf bank_mask:0xf// 00000000B108: 0B7372FA FF01511A
	v_mul_f32_dpp v186, v26, v186 row_newbcast:2 row_mask:0xf bank_mask:0xf// 00000000B110: 0B7574FA FF01521A
	v_mul_f32_dpp v187, v26, v187 row_newbcast:3 row_mask:0xf bank_mask:0xf// 00000000B118: 0B7776FA FF01531A
	v_cvt_f32_i32_e32 v188, v188                               // 00000000B120: 7F780BBC
	v_cvt_f32_i32_e32 v189, v189                               // 00000000B124: 7F7A0BBD
	v_cvt_f32_i32_e32 v190, v190                               // 00000000B128: 7F7C0BBE
	v_cvt_f32_i32_e32 v191, v191                               // 00000000B12C: 7F7E0BBF
	v_mul_f32_dpp v188, v26, v188 row_newbcast:0 row_mask:0xf bank_mask:0xf// 00000000B130: 0B7978FA FF01501A
	v_mul_f32_dpp v189, v26, v189 row_newbcast:1 row_mask:0xf bank_mask:0xf// 00000000B138: 0B7B7AFA FF01511A
	v_mul_f32_dpp v190, v26, v190 row_newbcast:2 row_mask:0xf bank_mask:0xf// 00000000B140: 0B7D7CFA FF01521A
	v_mul_f32_dpp v191, v26, v191 row_newbcast:3 row_mask:0xf bank_mask:0xf// 00000000B148: 0B7F7EFA FF01531A
	v_cvt_f32_i32_e32 v192, v192                               // 00000000B150: 7F800BC0
	v_cvt_f32_i32_e32 v193, v193                               // 00000000B154: 7F820BC1
	v_cvt_f32_i32_e32 v194, v194                               // 00000000B158: 7F840BC2
	v_cvt_f32_i32_e32 v195, v195                               // 00000000B15C: 7F860BC3
	v_mul_f32_dpp v192, v26, v192 row_newbcast:4 row_mask:0xf bank_mask:0xf// 00000000B160: 0B8180FA FF01541A
	v_mul_f32_dpp v193, v26, v193 row_newbcast:5 row_mask:0xf bank_mask:0xf// 00000000B168: 0B8382FA FF01551A
	v_mul_f32_dpp v194, v26, v194 row_newbcast:6 row_mask:0xf bank_mask:0xf// 00000000B170: 0B8584FA FF01561A
	v_mul_f32_dpp v195, v26, v195 row_newbcast:7 row_mask:0xf bank_mask:0xf// 00000000B178: 0B8786FA FF01571A
	v_cvt_f32_i32_e32 v196, v196                               // 00000000B180: 7F880BC4
	v_cvt_f32_i32_e32 v197, v197                               // 00000000B184: 7F8A0BC5
	v_cvt_f32_i32_e32 v198, v198                               // 00000000B188: 7F8C0BC6
	v_cvt_f32_i32_e32 v199, v199                               // 00000000B18C: 7F8E0BC7
	v_mul_f32_dpp v196, v26, v196 row_newbcast:4 row_mask:0xf bank_mask:0xf// 00000000B190: 0B8988FA FF01541A
	v_mul_f32_dpp v197, v26, v197 row_newbcast:5 row_mask:0xf bank_mask:0xf// 00000000B198: 0B8B8AFA FF01551A
	v_mul_f32_dpp v198, v26, v198 row_newbcast:6 row_mask:0xf bank_mask:0xf// 00000000B1A0: 0B8D8CFA FF01561A
	v_mul_f32_dpp v199, v26, v199 row_newbcast:7 row_mask:0xf bank_mask:0xf// 00000000B1A8: 0B8F8EFA FF01571A
	v_cvt_f32_i32_e32 v200, v200                               // 00000000B1B0: 7F900BC8
	v_cvt_f32_i32_e32 v201, v201                               // 00000000B1B4: 7F920BC9
	v_cvt_f32_i32_e32 v202, v202                               // 00000000B1B8: 7F940BCA
	v_cvt_f32_i32_e32 v203, v203                               // 00000000B1BC: 7F960BCB
	v_mul_f32_dpp v200, v26, v200 row_newbcast:4 row_mask:0xf bank_mask:0xf// 00000000B1C0: 0B9190FA FF01541A
	v_mul_f32_dpp v201, v26, v201 row_newbcast:5 row_mask:0xf bank_mask:0xf// 00000000B1C8: 0B9392FA FF01551A
	v_mul_f32_dpp v202, v26, v202 row_newbcast:6 row_mask:0xf bank_mask:0xf// 00000000B1D0: 0B9594FA FF01561A
	v_mul_f32_dpp v203, v26, v203 row_newbcast:7 row_mask:0xf bank_mask:0xf// 00000000B1D8: 0B9796FA FF01571A
	v_cvt_f32_i32_e32 v204, v204                               // 00000000B1E0: 7F980BCC
	v_cvt_f32_i32_e32 v205, v205                               // 00000000B1E4: 7F9A0BCD
	v_cvt_f32_i32_e32 v206, v206                               // 00000000B1E8: 7F9C0BCE
	v_cvt_f32_i32_e32 v207, v207                               // 00000000B1EC: 7F9E0BCF
	v_mul_f32_dpp v204, v26, v204 row_newbcast:4 row_mask:0xf bank_mask:0xf// 00000000B1F0: 0B9998FA FF01541A
	v_mul_f32_dpp v205, v26, v205 row_newbcast:5 row_mask:0xf bank_mask:0xf// 00000000B1F8: 0B9B9AFA FF01551A
	v_mul_f32_dpp v206, v26, v206 row_newbcast:6 row_mask:0xf bank_mask:0xf// 00000000B200: 0B9D9CFA FF01561A
	v_mul_f32_dpp v207, v26, v207 row_newbcast:7 row_mask:0xf bank_mask:0xf// 00000000B208: 0B9F9EFA FF01571A
	v_cvt_f32_i32_e32 v208, v208                               // 00000000B210: 7FA00BD0
	v_cvt_f32_i32_e32 v209, v209                               // 00000000B214: 7FA20BD1
	v_cvt_f32_i32_e32 v210, v210                               // 00000000B218: 7FA40BD2
	v_cvt_f32_i32_e32 v211, v211                               // 00000000B21C: 7FA60BD3
	v_mul_f32_dpp v208, v26, v208 row_newbcast:4 row_mask:0xf bank_mask:0xf// 00000000B220: 0BA1A0FA FF01541A
	v_mul_f32_dpp v209, v26, v209 row_newbcast:5 row_mask:0xf bank_mask:0xf// 00000000B228: 0BA3A2FA FF01551A
	v_mul_f32_dpp v210, v26, v210 row_newbcast:6 row_mask:0xf bank_mask:0xf// 00000000B230: 0BA5A4FA FF01561A
	v_mul_f32_dpp v211, v26, v211 row_newbcast:7 row_mask:0xf bank_mask:0xf// 00000000B238: 0BA7A6FA FF01571A
	v_cvt_f32_i32_e32 v212, v212                               // 00000000B240: 7FA80BD4
	v_cvt_f32_i32_e32 v213, v213                               // 00000000B244: 7FAA0BD5
	v_cvt_f32_i32_e32 v214, v214                               // 00000000B248: 7FAC0BD6
	v_cvt_f32_i32_e32 v215, v215                               // 00000000B24C: 7FAE0BD7
	v_mul_f32_dpp v212, v26, v212 row_newbcast:4 row_mask:0xf bank_mask:0xf// 00000000B250: 0BA9A8FA FF01541A
	v_mul_f32_dpp v213, v26, v213 row_newbcast:5 row_mask:0xf bank_mask:0xf// 00000000B258: 0BABAAFA FF01551A
	v_mul_f32_dpp v214, v26, v214 row_newbcast:6 row_mask:0xf bank_mask:0xf// 00000000B260: 0BADACFA FF01561A
	v_mul_f32_dpp v215, v26, v215 row_newbcast:7 row_mask:0xf bank_mask:0xf// 00000000B268: 0BAFAEFA FF01571A
	v_cvt_f32_i32_e32 v216, v216                               // 00000000B270: 7FB00BD8
	v_cvt_f32_i32_e32 v217, v217                               // 00000000B274: 7FB20BD9
	v_cvt_f32_i32_e32 v218, v218                               // 00000000B278: 7FB40BDA
	v_cvt_f32_i32_e32 v219, v219                               // 00000000B27C: 7FB60BDB
	v_mul_f32_dpp v216, v26, v216 row_newbcast:4 row_mask:0xf bank_mask:0xf// 00000000B280: 0BB1B0FA FF01541A
	v_mul_f32_dpp v217, v26, v217 row_newbcast:5 row_mask:0xf bank_mask:0xf// 00000000B288: 0BB3B2FA FF01551A
	v_mul_f32_dpp v218, v26, v218 row_newbcast:6 row_mask:0xf bank_mask:0xf// 00000000B290: 0BB5B4FA FF01561A
	v_mul_f32_dpp v219, v26, v219 row_newbcast:7 row_mask:0xf bank_mask:0xf// 00000000B298: 0BB7B6FA FF01571A
	v_cvt_f32_i32_e32 v220, v220                               // 00000000B2A0: 7FB80BDC
	v_cvt_f32_i32_e32 v221, v221                               // 00000000B2A4: 7FBA0BDD
	v_cvt_f32_i32_e32 v222, v222                               // 00000000B2A8: 7FBC0BDE
	v_cvt_f32_i32_e32 v223, v223                               // 00000000B2AC: 7FBE0BDF
	v_mul_f32_dpp v220, v26, v220 row_newbcast:4 row_mask:0xf bank_mask:0xf// 00000000B2B0: 0BB9B8FA FF01541A
	v_mul_f32_dpp v221, v26, v221 row_newbcast:5 row_mask:0xf bank_mask:0xf// 00000000B2B8: 0BBBBAFA FF01551A
	v_mul_f32_dpp v222, v26, v222 row_newbcast:6 row_mask:0xf bank_mask:0xf// 00000000B2C0: 0BBDBCFA FF01561A
	v_mul_f32_dpp v223, v26, v223 row_newbcast:7 row_mask:0xf bank_mask:0xf// 00000000B2C8: 0BBFBEFA FF01571A
	v_cvt_f32_i32_e32 v224, v224                               // 00000000B2D0: 7FC00BE0
	v_cvt_f32_i32_e32 v225, v225                               // 00000000B2D4: 7FC20BE1
	v_cvt_f32_i32_e32 v226, v226                               // 00000000B2D8: 7FC40BE2
	v_cvt_f32_i32_e32 v227, v227                               // 00000000B2DC: 7FC60BE3
	v_mul_f32_dpp v224, v26, v224 row_newbcast:4 row_mask:0xf bank_mask:0xf// 00000000B2E0: 0BC1C0FA FF01541A
	v_mul_f32_dpp v225, v26, v225 row_newbcast:5 row_mask:0xf bank_mask:0xf// 00000000B2E8: 0BC3C2FA FF01551A
	v_mul_f32_dpp v226, v26, v226 row_newbcast:6 row_mask:0xf bank_mask:0xf// 00000000B2F0: 0BC5C4FA FF01561A
	v_mul_f32_dpp v227, v26, v227 row_newbcast:7 row_mask:0xf bank_mask:0xf// 00000000B2F8: 0BC7C6FA FF01571A
	v_mov_b32_e32 v4, v37                                      // 00000000B300: 7E080325
	v_mov_b32_e32 v5, v4                                       // 00000000B304: 7E0A0304
	v_pk_mul_f32 v[84:85], v[4:5], v[84:85]                    // 00000000B308: D3B14054 1802A904
	v_pk_mul_f32 v[156:157], v[4:5], v[156:157]                // 00000000B310: D3B1409C 18033904
	v_pk_mul_f32 v[86:87], v[4:5], v[86:87]                    // 00000000B318: D3B14056 1802AD04
	v_pk_mul_f32 v[158:159], v[4:5], v[158:159]                // 00000000B320: D3B1409E 18033D04
	v_pk_mul_f32 v[120:121], v[4:5], v[120:121]                // 00000000B328: D3B14078 1802F104
	v_pk_mul_f32 v[192:193], v[4:5], v[192:193]                // 00000000B330: D3B140C0 18038104
	v_pk_mul_f32 v[122:123], v[4:5], v[122:123]                // 00000000B338: D3B1407A 1802F504
	v_pk_mul_f32 v[194:195], v[4:5], v[194:195]                // 00000000B340: D3B140C2 18038504
	v_mov_b32_e32 v4, v38                                      // 00000000B348: 7E080326
	v_mov_b32_e32 v5, v4                                       // 00000000B34C: 7E0A0304
	v_pk_mul_f32 v[88:89], v[4:5], v[88:89]                    // 00000000B350: D3B14058 1802B104
	v_pk_mul_f32 v[160:161], v[4:5], v[160:161]                // 00000000B358: D3B140A0 18034104
	v_pk_mul_f32 v[90:91], v[4:5], v[90:91]                    // 00000000B360: D3B1405A 1802B504
	v_pk_mul_f32 v[162:163], v[4:5], v[162:163]                // 00000000B368: D3B140A2 18034504
	v_pk_mul_f32 v[124:125], v[4:5], v[124:125]                // 00000000B370: D3B1407C 1802F904
	v_pk_mul_f32 v[196:197], v[4:5], v[196:197]                // 00000000B378: D3B140C4 18038904
	v_pk_mul_f32 v[126:127], v[4:5], v[126:127]                // 00000000B380: D3B1407E 1802FD04
	v_pk_mul_f32 v[198:199], v[4:5], v[198:199]                // 00000000B388: D3B140C6 18038D04
	v_mov_b32_e32 v4, v39                                      // 00000000B390: 7E080327
	v_mov_b32_e32 v5, v4                                       // 00000000B394: 7E0A0304
	v_pk_mul_f32 v[92:93], v[4:5], v[92:93]                    // 00000000B398: D3B1405C 1802B904
	v_pk_mul_f32 v[164:165], v[4:5], v[164:165]                // 00000000B3A0: D3B140A4 18034904
	v_pk_mul_f32 v[94:95], v[4:5], v[94:95]                    // 00000000B3A8: D3B1405E 1802BD04
	v_pk_mul_f32 v[166:167], v[4:5], v[166:167]                // 00000000B3B0: D3B140A6 18034D04
	v_pk_mul_f32 v[128:129], v[4:5], v[128:129]                // 00000000B3B8: D3B14080 18030104
	v_pk_mul_f32 v[200:201], v[4:5], v[200:201]                // 00000000B3C0: D3B140C8 18039104
	v_pk_mul_f32 v[130:131], v[4:5], v[130:131]                // 00000000B3C8: D3B14082 18030504
	v_pk_mul_f32 v[202:203], v[4:5], v[202:203]                // 00000000B3D0: D3B140CA 18039504
	v_mov_b32_e32 v4, v40                                      // 00000000B3D8: 7E080328
	v_mov_b32_e32 v5, v4                                       // 00000000B3DC: 7E0A0304
	v_pk_mul_f32 v[96:97], v[4:5], v[96:97]                    // 00000000B3E0: D3B14060 1802C104
	v_pk_mul_f32 v[168:169], v[4:5], v[168:169]                // 00000000B3E8: D3B140A8 18035104
	v_pk_mul_f32 v[98:99], v[4:5], v[98:99]                    // 00000000B3F0: D3B14062 1802C504
	v_pk_mul_f32 v[170:171], v[4:5], v[170:171]                // 00000000B3F8: D3B140AA 18035504
	v_pk_mul_f32 v[132:133], v[4:5], v[132:133]                // 00000000B400: D3B14084 18030904
	v_pk_mul_f32 v[204:205], v[4:5], v[204:205]                // 00000000B408: D3B140CC 18039904
	v_pk_mul_f32 v[134:135], v[4:5], v[134:135]                // 00000000B410: D3B14086 18030D04
	v_pk_mul_f32 v[206:207], v[4:5], v[206:207]                // 00000000B418: D3B140CE 18039D04
	v_mov_b32_e32 v4, v41                                      // 00000000B420: 7E080329
	v_mov_b32_e32 v5, v4                                       // 00000000B424: 7E0A0304
	v_pk_mul_f32 v[100:101], v[4:5], v[100:101]                // 00000000B428: D3B14064 1802C904
	v_pk_mul_f32 v[172:173], v[4:5], v[172:173]                // 00000000B430: D3B140AC 18035904
	v_pk_mul_f32 v[102:103], v[4:5], v[102:103]                // 00000000B438: D3B14066 1802CD04
	v_pk_mul_f32 v[174:175], v[4:5], v[174:175]                // 00000000B440: D3B140AE 18035D04
	v_pk_mul_f32 v[136:137], v[4:5], v[136:137]                // 00000000B448: D3B14088 18031104
	v_pk_mul_f32 v[208:209], v[4:5], v[208:209]                // 00000000B450: D3B140D0 1803A104
	v_pk_mul_f32 v[138:139], v[4:5], v[138:139]                // 00000000B458: D3B1408A 18031504
	v_pk_mul_f32 v[210:211], v[4:5], v[210:211]                // 00000000B460: D3B140D2 1803A504
	v_mov_b32_e32 v4, v42                                      // 00000000B468: 7E08032A
	v_mov_b32_e32 v5, v4                                       // 00000000B46C: 7E0A0304
	v_pk_mul_f32 v[104:105], v[4:5], v[104:105]                // 00000000B470: D3B14068 1802D104
	v_pk_mul_f32 v[176:177], v[4:5], v[176:177]                // 00000000B478: D3B140B0 18036104
	v_pk_mul_f32 v[106:107], v[4:5], v[106:107]                // 00000000B480: D3B1406A 1802D504
	v_pk_mul_f32 v[178:179], v[4:5], v[178:179]                // 00000000B488: D3B140B2 18036504
	v_pk_mul_f32 v[140:141], v[4:5], v[140:141]                // 00000000B490: D3B1408C 18031904
	v_pk_mul_f32 v[212:213], v[4:5], v[212:213]                // 00000000B498: D3B140D4 1803A904
	v_pk_mul_f32 v[142:143], v[4:5], v[142:143]                // 00000000B4A0: D3B1408E 18031D04
	v_pk_mul_f32 v[214:215], v[4:5], v[214:215]                // 00000000B4A8: D3B140D6 1803AD04
	v_mov_b32_e32 v4, v43                                      // 00000000B4B0: 7E08032B
	v_mov_b32_e32 v5, v4                                       // 00000000B4B4: 7E0A0304
	v_pk_mul_f32 v[108:109], v[4:5], v[108:109]                // 00000000B4B8: D3B1406C 1802D904
	v_pk_mul_f32 v[180:181], v[4:5], v[180:181]                // 00000000B4C0: D3B140B4 18036904
	v_pk_mul_f32 v[110:111], v[4:5], v[110:111]                // 00000000B4C8: D3B1406E 1802DD04
	v_pk_mul_f32 v[182:183], v[4:5], v[182:183]                // 00000000B4D0: D3B140B6 18036D04
	v_pk_mul_f32 v[144:145], v[4:5], v[144:145]                // 00000000B4D8: D3B14090 18032104
	v_pk_mul_f32 v[216:217], v[4:5], v[216:217]                // 00000000B4E0: D3B140D8 1803B104
	v_pk_mul_f32 v[146:147], v[4:5], v[146:147]                // 00000000B4E8: D3B14092 18032504
	v_pk_mul_f32 v[218:219], v[4:5], v[218:219]                // 00000000B4F0: D3B140DA 1803B504
	v_mov_b32_e32 v4, v44                                      // 00000000B4F8: 7E08032C
	v_mov_b32_e32 v5, v4                                       // 00000000B4FC: 7E0A0304
	v_pk_mul_f32 v[112:113], v[4:5], v[112:113]                // 00000000B500: D3B14070 1802E104
	v_pk_mul_f32 v[184:185], v[4:5], v[184:185]                // 00000000B508: D3B140B8 18037104
	v_pk_mul_f32 v[114:115], v[4:5], v[114:115]                // 00000000B510: D3B14072 1802E504
	v_pk_mul_f32 v[186:187], v[4:5], v[186:187]                // 00000000B518: D3B140BA 18037504
	v_pk_mul_f32 v[148:149], v[4:5], v[148:149]                // 00000000B520: D3B14094 18032904
	v_pk_mul_f32 v[220:221], v[4:5], v[220:221]                // 00000000B528: D3B140DC 1803B904
	v_pk_mul_f32 v[150:151], v[4:5], v[150:151]                // 00000000B530: D3B14096 18032D04
	v_pk_mul_f32 v[222:223], v[4:5], v[222:223]                // 00000000B538: D3B140DE 1803BD04
	v_mov_b32_e32 v4, v45                                      // 00000000B540: 7E08032D
	v_mov_b32_e32 v5, v4                                       // 00000000B544: 7E0A0304
	v_pk_mul_f32 v[116:117], v[4:5], v[116:117]                // 00000000B548: D3B14074 1802E904
	v_pk_mul_f32 v[188:189], v[4:5], v[188:189]                // 00000000B550: D3B140BC 18037904
	v_pk_mul_f32 v[118:119], v[4:5], v[118:119]                // 00000000B558: D3B14076 1802ED04
	v_pk_mul_f32 v[190:191], v[4:5], v[190:191]                // 00000000B560: D3B140BE 18037D04
	v_pk_mul_f32 v[152:153], v[4:5], v[152:153]                // 00000000B568: D3B14098 18033104
	v_pk_mul_f32 v[224:225], v[4:5], v[224:225]                // 00000000B570: D3B140E0 1803C104
	v_pk_mul_f32 v[154:155], v[4:5], v[154:155]                // 00000000B578: D3B1409A 18033504
	v_pk_mul_f32 v[226:227], v[4:5], v[226:227]                // 00000000B580: D3B140E2 1803C504
	s_cmp_eq_u32 s88, 0                                        // 00000000B588: BF068058
	s_cbranch_scc0 label_2D70                                  // 00000000B58C: BF840A89
	s_cmp_eq_u32 s89, 0                                        // 00000000B590: BF068059
	s_cbranch_scc1 label_25BE                                  // 00000000B594: BF8502D5
	v_mov_b32_e32 v8, v1                                       // 00000000B598: 7E100301
	v_mov_b32_e32 v9, v1                                       // 00000000B59C: 7E120301
	s_mov_b32 s60, s6                                          // 00000000B5A0: BEBC0006
	s_mov_b32 s61, s6                                          // 00000000B5A4: BEBD0006
	v_pk_mul_f32 v[4:5], v[84:85], v[84:85]                    // 00000000B5A8: D3B14004 1802A954
	v_pk_mul_f32 v[6:7], v[86:87], v[86:87]                    // 00000000B5B0: D3B14006 1802AD56
	v_pk_fma_f32 v[4:5], v[4:5], s[78:79], v[8:9]              // 00000000B5B8: D3B04004 1C209D04
	v_pk_fma_f32 v[6:7], v[6:7], s[78:79], v[8:9]              // 00000000B5C0: D3B04006 1C209D06
	v_pk_mul_f32 v[4:5], v[4:5], v[84:85]                      // 00000000B5C8: D3B14004 1802A904
	v_pk_mul_f32 v[6:7], v[6:7], v[86:87]                      // 00000000B5D0: D3B14006 1802AD06
	v_pk_mul_f32 v[4:5], v[4:5], s[60:61]                      // 00000000B5D8: D3B14004 18007904
	v_pk_mul_f32 v[6:7], v[6:7], s[60:61]                      // 00000000B5E0: D3B14006 18007906
	v_exp_f32_e32 v4, v4                                       // 00000000B5E8: 7E084104
	v_exp_f32_e32 v5, v5                                       // 00000000B5EC: 7E0A4105
	v_exp_f32_e32 v6, v6                                       // 00000000B5F0: 7E0C4106
	v_exp_f32_e32 v7, v7                                       // 00000000B5F4: 7E0E4107
	v_add_f32_e64 v4, v4, 1.0                                  // 00000000B5F8: D1010004 0001E504
	v_add_f32_e64 v5, v5, 1.0                                  // 00000000B600: D1010005 0001E505
	v_add_f32_e64 v6, v6, 1.0                                  // 00000000B608: D1010006 0001E506
	v_add_f32_e64 v7, v7, 1.0                                  // 00000000B610: D1010007 0001E507
	v_rcp_f32_e32 v4, v4                                       // 00000000B618: 7E084504
	v_rcp_f32_e32 v5, v5                                       // 00000000B61C: 7E0A4505
	v_rcp_f32_e32 v6, v6                                       // 00000000B620: 7E0C4506
	v_rcp_f32_e32 v7, v7                                       // 00000000B624: 7E0E4507
	v_mul_f32_e32 v84, v84, v4                                 // 00000000B628: 0AA80954
	v_mul_f32_e32 v85, v85, v5                                 // 00000000B62C: 0AAA0B55
	v_mul_f32_e32 v86, v86, v6                                 // 00000000B630: 0AAC0D56
	v_mul_f32_e32 v87, v87, v7                                 // 00000000B634: 0AAE0F57
	v_mul_f32_e32 v84, v84, v156                               // 00000000B638: 0AA93954
	v_mul_f32_e32 v85, v85, v157                               // 00000000B63C: 0AAB3B55
	v_mul_f32_e32 v86, v86, v158                               // 00000000B640: 0AAD3D56
	v_mul_f32_e32 v87, v87, v159                               // 00000000B644: 0AAF3F57
	v_pk_mul_f32 v[4:5], v[88:89], v[88:89]                    // 00000000B648: D3B14004 1802B158
	v_pk_mul_f32 v[6:7], v[90:91], v[90:91]                    // 00000000B650: D3B14006 1802B55A
	v_pk_fma_f32 v[4:5], v[4:5], s[78:79], v[8:9]              // 00000000B658: D3B04004 1C209D04
	v_pk_fma_f32 v[6:7], v[6:7], s[78:79], v[8:9]              // 00000000B660: D3B04006 1C209D06
	v_pk_mul_f32 v[4:5], v[4:5], v[88:89]                      // 00000000B668: D3B14004 1802B104
	v_pk_mul_f32 v[6:7], v[6:7], v[90:91]                      // 00000000B670: D3B14006 1802B506
	v_pk_mul_f32 v[4:5], v[4:5], s[60:61]                      // 00000000B678: D3B14004 18007904
	v_pk_mul_f32 v[6:7], v[6:7], s[60:61]                      // 00000000B680: D3B14006 18007906
	v_exp_f32_e32 v4, v4                                       // 00000000B688: 7E084104
	v_exp_f32_e32 v5, v5                                       // 00000000B68C: 7E0A4105
	v_exp_f32_e32 v6, v6                                       // 00000000B690: 7E0C4106
	v_exp_f32_e32 v7, v7                                       // 00000000B694: 7E0E4107
	v_add_f32_e64 v4, v4, 1.0                                  // 00000000B698: D1010004 0001E504
	v_add_f32_e64 v5, v5, 1.0                                  // 00000000B6A0: D1010005 0001E505
	v_add_f32_e64 v6, v6, 1.0                                  // 00000000B6A8: D1010006 0001E506
	v_add_f32_e64 v7, v7, 1.0                                  // 00000000B6B0: D1010007 0001E507
	v_rcp_f32_e32 v4, v4                                       // 00000000B6B8: 7E084504
	v_rcp_f32_e32 v5, v5                                       // 00000000B6BC: 7E0A4505
	v_rcp_f32_e32 v6, v6                                       // 00000000B6C0: 7E0C4506
	v_rcp_f32_e32 v7, v7                                       // 00000000B6C4: 7E0E4507
	v_mul_f32_e32 v88, v88, v4                                 // 00000000B6C8: 0AB00958
	v_mul_f32_e32 v89, v89, v5                                 // 00000000B6CC: 0AB20B59
	v_mul_f32_e32 v90, v90, v6                                 // 00000000B6D0: 0AB40D5A
	v_mul_f32_e32 v91, v91, v7                                 // 00000000B6D4: 0AB60F5B
	v_mul_f32_e32 v88, v88, v160                               // 00000000B6D8: 0AB14158
	v_mul_f32_e32 v89, v89, v161                               // 00000000B6DC: 0AB34359
	v_mul_f32_e32 v90, v90, v162                               // 00000000B6E0: 0AB5455A
	v_mul_f32_e32 v91, v91, v163                               // 00000000B6E4: 0AB7475B
	v_pk_mul_f32 v[4:5], v[92:93], v[92:93]                    // 00000000B6E8: D3B14004 1802B95C
	v_pk_mul_f32 v[6:7], v[94:95], v[94:95]                    // 00000000B6F0: D3B14006 1802BD5E
	v_pk_fma_f32 v[4:5], v[4:5], s[78:79], v[8:9]              // 00000000B6F8: D3B04004 1C209D04
	v_pk_fma_f32 v[6:7], v[6:7], s[78:79], v[8:9]              // 00000000B700: D3B04006 1C209D06
	v_pk_mul_f32 v[4:5], v[4:5], v[92:93]                      // 00000000B708: D3B14004 1802B904
	v_pk_mul_f32 v[6:7], v[6:7], v[94:95]                      // 00000000B710: D3B14006 1802BD06
	v_pk_mul_f32 v[4:5], v[4:5], s[60:61]                      // 00000000B718: D3B14004 18007904
	v_pk_mul_f32 v[6:7], v[6:7], s[60:61]                      // 00000000B720: D3B14006 18007906
	v_exp_f32_e32 v4, v4                                       // 00000000B728: 7E084104
	v_exp_f32_e32 v5, v5                                       // 00000000B72C: 7E0A4105
	v_exp_f32_e32 v6, v6                                       // 00000000B730: 7E0C4106
	v_exp_f32_e32 v7, v7                                       // 00000000B734: 7E0E4107
	v_add_f32_e64 v4, v4, 1.0                                  // 00000000B738: D1010004 0001E504
	v_add_f32_e64 v5, v5, 1.0                                  // 00000000B740: D1010005 0001E505
	v_add_f32_e64 v6, v6, 1.0                                  // 00000000B748: D1010006 0001E506
	v_add_f32_e64 v7, v7, 1.0                                  // 00000000B750: D1010007 0001E507
	v_rcp_f32_e32 v4, v4                                       // 00000000B758: 7E084504
	v_rcp_f32_e32 v5, v5                                       // 00000000B75C: 7E0A4505
	v_rcp_f32_e32 v6, v6                                       // 00000000B760: 7E0C4506
	v_rcp_f32_e32 v7, v7                                       // 00000000B764: 7E0E4507
	v_mul_f32_e32 v92, v92, v4                                 // 00000000B768: 0AB8095C
	v_mul_f32_e32 v93, v93, v5                                 // 00000000B76C: 0ABA0B5D
	v_mul_f32_e32 v94, v94, v6                                 // 00000000B770: 0ABC0D5E
	v_mul_f32_e32 v95, v95, v7                                 // 00000000B774: 0ABE0F5F
	v_mul_f32_e32 v92, v92, v164                               // 00000000B778: 0AB9495C
	v_mul_f32_e32 v93, v93, v165                               // 00000000B77C: 0ABB4B5D
	v_mul_f32_e32 v94, v94, v166                               // 00000000B780: 0ABD4D5E
	v_mul_f32_e32 v95, v95, v167                               // 00000000B784: 0ABF4F5F
	v_pk_mul_f32 v[4:5], v[96:97], v[96:97]                    // 00000000B788: D3B14004 1802C160
	v_pk_mul_f32 v[6:7], v[98:99], v[98:99]                    // 00000000B790: D3B14006 1802C562
	v_pk_fma_f32 v[4:5], v[4:5], s[78:79], v[8:9]              // 00000000B798: D3B04004 1C209D04
	v_pk_fma_f32 v[6:7], v[6:7], s[78:79], v[8:9]              // 00000000B7A0: D3B04006 1C209D06
	v_pk_mul_f32 v[4:5], v[4:5], v[96:97]                      // 00000000B7A8: D3B14004 1802C104
	v_pk_mul_f32 v[6:7], v[6:7], v[98:99]                      // 00000000B7B0: D3B14006 1802C506
	v_pk_mul_f32 v[4:5], v[4:5], s[60:61]                      // 00000000B7B8: D3B14004 18007904
	v_pk_mul_f32 v[6:7], v[6:7], s[60:61]                      // 00000000B7C0: D3B14006 18007906
	v_exp_f32_e32 v4, v4                                       // 00000000B7C8: 7E084104
	v_exp_f32_e32 v5, v5                                       // 00000000B7CC: 7E0A4105
	v_exp_f32_e32 v6, v6                                       // 00000000B7D0: 7E0C4106
	v_exp_f32_e32 v7, v7                                       // 00000000B7D4: 7E0E4107
	v_add_f32_e64 v4, v4, 1.0                                  // 00000000B7D8: D1010004 0001E504
	v_add_f32_e64 v5, v5, 1.0                                  // 00000000B7E0: D1010005 0001E505
	v_add_f32_e64 v6, v6, 1.0                                  // 00000000B7E8: D1010006 0001E506
	v_add_f32_e64 v7, v7, 1.0                                  // 00000000B7F0: D1010007 0001E507
	v_rcp_f32_e32 v4, v4                                       // 00000000B7F8: 7E084504
	v_rcp_f32_e32 v5, v5                                       // 00000000B7FC: 7E0A4505
	v_rcp_f32_e32 v6, v6                                       // 00000000B800: 7E0C4506
	v_rcp_f32_e32 v7, v7                                       // 00000000B804: 7E0E4507
	v_mul_f32_e32 v96, v96, v4                                 // 00000000B808: 0AC00960
	v_mul_f32_e32 v97, v97, v5                                 // 00000000B80C: 0AC20B61
	v_mul_f32_e32 v98, v98, v6                                 // 00000000B810: 0AC40D62
	v_mul_f32_e32 v99, v99, v7                                 // 00000000B814: 0AC60F63
	v_mul_f32_e32 v96, v96, v168                               // 00000000B818: 0AC15160
	v_mul_f32_e32 v97, v97, v169                               // 00000000B81C: 0AC35361
	v_mul_f32_e32 v98, v98, v170                               // 00000000B820: 0AC55562
	v_mul_f32_e32 v99, v99, v171                               // 00000000B824: 0AC75763
	v_pk_mul_f32 v[4:5], v[100:101], v[100:101]                // 00000000B828: D3B14004 1802C964
	v_pk_mul_f32 v[6:7], v[102:103], v[102:103]                // 00000000B830: D3B14006 1802CD66
	v_pk_fma_f32 v[4:5], v[4:5], s[78:79], v[8:9]              // 00000000B838: D3B04004 1C209D04
	v_pk_fma_f32 v[6:7], v[6:7], s[78:79], v[8:9]              // 00000000B840: D3B04006 1C209D06
	v_pk_mul_f32 v[4:5], v[4:5], v[100:101]                    // 00000000B848: D3B14004 1802C904
	v_pk_mul_f32 v[6:7], v[6:7], v[102:103]                    // 00000000B850: D3B14006 1802CD06
	v_pk_mul_f32 v[4:5], v[4:5], s[60:61]                      // 00000000B858: D3B14004 18007904
	v_pk_mul_f32 v[6:7], v[6:7], s[60:61]                      // 00000000B860: D3B14006 18007906
	v_exp_f32_e32 v4, v4                                       // 00000000B868: 7E084104
	v_exp_f32_e32 v5, v5                                       // 00000000B86C: 7E0A4105
	v_exp_f32_e32 v6, v6                                       // 00000000B870: 7E0C4106
	v_exp_f32_e32 v7, v7                                       // 00000000B874: 7E0E4107
	v_add_f32_e64 v4, v4, 1.0                                  // 00000000B878: D1010004 0001E504
	v_add_f32_e64 v5, v5, 1.0                                  // 00000000B880: D1010005 0001E505
	v_add_f32_e64 v6, v6, 1.0                                  // 00000000B888: D1010006 0001E506
	v_add_f32_e64 v7, v7, 1.0                                  // 00000000B890: D1010007 0001E507
	v_rcp_f32_e32 v4, v4                                       // 00000000B898: 7E084504
	v_rcp_f32_e32 v5, v5                                       // 00000000B89C: 7E0A4505
	v_rcp_f32_e32 v6, v6                                       // 00000000B8A0: 7E0C4506
	v_rcp_f32_e32 v7, v7                                       // 00000000B8A4: 7E0E4507
	v_mul_f32_e32 v100, v100, v4                               // 00000000B8A8: 0AC80964
	v_mul_f32_e32 v101, v101, v5                               // 00000000B8AC: 0ACA0B65
	v_mul_f32_e32 v102, v102, v6                               // 00000000B8B0: 0ACC0D66
	v_mul_f32_e32 v103, v103, v7                               // 00000000B8B4: 0ACE0F67
	v_mul_f32_e32 v100, v100, v172                             // 00000000B8B8: 0AC95964
	v_mul_f32_e32 v101, v101, v173                             // 00000000B8BC: 0ACB5B65
	v_mul_f32_e32 v102, v102, v174                             // 00000000B8C0: 0ACD5D66
	v_mul_f32_e32 v103, v103, v175                             // 00000000B8C4: 0ACF5F67
	v_pk_mul_f32 v[4:5], v[104:105], v[104:105]                // 00000000B8C8: D3B14004 1802D168
	v_pk_mul_f32 v[6:7], v[106:107], v[106:107]                // 00000000B8D0: D3B14006 1802D56A
	v_pk_fma_f32 v[4:5], v[4:5], s[78:79], v[8:9]              // 00000000B8D8: D3B04004 1C209D04
	v_pk_fma_f32 v[6:7], v[6:7], s[78:79], v[8:9]              // 00000000B8E0: D3B04006 1C209D06
	v_pk_mul_f32 v[4:5], v[4:5], v[104:105]                    // 00000000B8E8: D3B14004 1802D104
	v_pk_mul_f32 v[6:7], v[6:7], v[106:107]                    // 00000000B8F0: D3B14006 1802D506
	v_pk_mul_f32 v[4:5], v[4:5], s[60:61]                      // 00000000B8F8: D3B14004 18007904
	v_pk_mul_f32 v[6:7], v[6:7], s[60:61]                      // 00000000B900: D3B14006 18007906
	v_exp_f32_e32 v4, v4                                       // 00000000B908: 7E084104
	v_exp_f32_e32 v5, v5                                       // 00000000B90C: 7E0A4105
	v_exp_f32_e32 v6, v6                                       // 00000000B910: 7E0C4106
	v_exp_f32_e32 v7, v7                                       // 00000000B914: 7E0E4107
	v_add_f32_e64 v4, v4, 1.0                                  // 00000000B918: D1010004 0001E504
	v_add_f32_e64 v5, v5, 1.0                                  // 00000000B920: D1010005 0001E505
	v_add_f32_e64 v6, v6, 1.0                                  // 00000000B928: D1010006 0001E506
	v_add_f32_e64 v7, v7, 1.0                                  // 00000000B930: D1010007 0001E507
	v_rcp_f32_e32 v4, v4                                       // 00000000B938: 7E084504
	v_rcp_f32_e32 v5, v5                                       // 00000000B93C: 7E0A4505
	v_rcp_f32_e32 v6, v6                                       // 00000000B940: 7E0C4506
	v_rcp_f32_e32 v7, v7                                       // 00000000B944: 7E0E4507
	v_mul_f32_e32 v104, v104, v4                               // 00000000B948: 0AD00968
	v_mul_f32_e32 v105, v105, v5                               // 00000000B94C: 0AD20B69
	v_mul_f32_e32 v106, v106, v6                               // 00000000B950: 0AD40D6A
	v_mul_f32_e32 v107, v107, v7                               // 00000000B954: 0AD60F6B
	v_mul_f32_e32 v104, v104, v176                             // 00000000B958: 0AD16168
	v_mul_f32_e32 v105, v105, v177                             // 00000000B95C: 0AD36369
	v_mul_f32_e32 v106, v106, v178                             // 00000000B960: 0AD5656A
	v_mul_f32_e32 v107, v107, v179                             // 00000000B964: 0AD7676B
	v_pk_mul_f32 v[4:5], v[108:109], v[108:109]                // 00000000B968: D3B14004 1802D96C
	v_pk_mul_f32 v[6:7], v[110:111], v[110:111]                // 00000000B970: D3B14006 1802DD6E
	v_pk_fma_f32 v[4:5], v[4:5], s[78:79], v[8:9]              // 00000000B978: D3B04004 1C209D04
	v_pk_fma_f32 v[6:7], v[6:7], s[78:79], v[8:9]              // 00000000B980: D3B04006 1C209D06
	v_pk_mul_f32 v[4:5], v[4:5], v[108:109]                    // 00000000B988: D3B14004 1802D904
	v_pk_mul_f32 v[6:7], v[6:7], v[110:111]                    // 00000000B990: D3B14006 1802DD06
	v_pk_mul_f32 v[4:5], v[4:5], s[60:61]                      // 00000000B998: D3B14004 18007904
	v_pk_mul_f32 v[6:7], v[6:7], s[60:61]                      // 00000000B9A0: D3B14006 18007906
	v_exp_f32_e32 v4, v4                                       // 00000000B9A8: 7E084104
	v_exp_f32_e32 v5, v5                                       // 00000000B9AC: 7E0A4105
	v_exp_f32_e32 v6, v6                                       // 00000000B9B0: 7E0C4106
	v_exp_f32_e32 v7, v7                                       // 00000000B9B4: 7E0E4107
	v_add_f32_e64 v4, v4, 1.0                                  // 00000000B9B8: D1010004 0001E504
	v_add_f32_e64 v5, v5, 1.0                                  // 00000000B9C0: D1010005 0001E505
	v_add_f32_e64 v6, v6, 1.0                                  // 00000000B9C8: D1010006 0001E506
	v_add_f32_e64 v7, v7, 1.0                                  // 00000000B9D0: D1010007 0001E507
	v_rcp_f32_e32 v4, v4                                       // 00000000B9D8: 7E084504
	v_rcp_f32_e32 v5, v5                                       // 00000000B9DC: 7E0A4505
	v_rcp_f32_e32 v6, v6                                       // 00000000B9E0: 7E0C4506
	v_rcp_f32_e32 v7, v7                                       // 00000000B9E4: 7E0E4507
	v_mul_f32_e32 v108, v108, v4                               // 00000000B9E8: 0AD8096C
	v_mul_f32_e32 v109, v109, v5                               // 00000000B9EC: 0ADA0B6D
	v_mul_f32_e32 v110, v110, v6                               // 00000000B9F0: 0ADC0D6E
	v_mul_f32_e32 v111, v111, v7                               // 00000000B9F4: 0ADE0F6F
	v_mul_f32_e32 v108, v108, v180                             // 00000000B9F8: 0AD9696C
	v_mul_f32_e32 v109, v109, v181                             // 00000000B9FC: 0ADB6B6D
	v_mul_f32_e32 v110, v110, v182                             // 00000000BA00: 0ADD6D6E
	v_mul_f32_e32 v111, v111, v183                             // 00000000BA04: 0ADF6F6F
	v_pk_mul_f32 v[4:5], v[112:113], v[112:113]                // 00000000BA08: D3B14004 1802E170
	v_pk_mul_f32 v[6:7], v[114:115], v[114:115]                // 00000000BA10: D3B14006 1802E572
	v_pk_fma_f32 v[4:5], v[4:5], s[78:79], v[8:9]              // 00000000BA18: D3B04004 1C209D04
	v_pk_fma_f32 v[6:7], v[6:7], s[78:79], v[8:9]              // 00000000BA20: D3B04006 1C209D06
	v_pk_mul_f32 v[4:5], v[4:5], v[112:113]                    // 00000000BA28: D3B14004 1802E104
	v_pk_mul_f32 v[6:7], v[6:7], v[114:115]                    // 00000000BA30: D3B14006 1802E506
	v_pk_mul_f32 v[4:5], v[4:5], s[60:61]                      // 00000000BA38: D3B14004 18007904
	v_pk_mul_f32 v[6:7], v[6:7], s[60:61]                      // 00000000BA40: D3B14006 18007906
	v_exp_f32_e32 v4, v4                                       // 00000000BA48: 7E084104
	v_exp_f32_e32 v5, v5                                       // 00000000BA4C: 7E0A4105
	v_exp_f32_e32 v6, v6                                       // 00000000BA50: 7E0C4106
	v_exp_f32_e32 v7, v7                                       // 00000000BA54: 7E0E4107
	v_add_f32_e64 v4, v4, 1.0                                  // 00000000BA58: D1010004 0001E504
	v_add_f32_e64 v5, v5, 1.0                                  // 00000000BA60: D1010005 0001E505
	v_add_f32_e64 v6, v6, 1.0                                  // 00000000BA68: D1010006 0001E506
	v_add_f32_e64 v7, v7, 1.0                                  // 00000000BA70: D1010007 0001E507
	v_rcp_f32_e32 v4, v4                                       // 00000000BA78: 7E084504
	v_rcp_f32_e32 v5, v5                                       // 00000000BA7C: 7E0A4505
	v_rcp_f32_e32 v6, v6                                       // 00000000BA80: 7E0C4506
	v_rcp_f32_e32 v7, v7                                       // 00000000BA84: 7E0E4507
	v_mul_f32_e32 v112, v112, v4                               // 00000000BA88: 0AE00970
	v_mul_f32_e32 v113, v113, v5                               // 00000000BA8C: 0AE20B71
	v_mul_f32_e32 v114, v114, v6                               // 00000000BA90: 0AE40D72
	v_mul_f32_e32 v115, v115, v7                               // 00000000BA94: 0AE60F73
	v_mul_f32_e32 v112, v112, v184                             // 00000000BA98: 0AE17170
	v_mul_f32_e32 v113, v113, v185                             // 00000000BA9C: 0AE37371
	v_mul_f32_e32 v114, v114, v186                             // 00000000BAA0: 0AE57572
	v_mul_f32_e32 v115, v115, v187                             // 00000000BAA4: 0AE77773
	v_pk_mul_f32 v[4:5], v[116:117], v[116:117]                // 00000000BAA8: D3B14004 1802E974
	v_pk_mul_f32 v[6:7], v[118:119], v[118:119]                // 00000000BAB0: D3B14006 1802ED76
	v_pk_fma_f32 v[4:5], v[4:5], s[78:79], v[8:9]              // 00000000BAB8: D3B04004 1C209D04
	v_pk_fma_f32 v[6:7], v[6:7], s[78:79], v[8:9]              // 00000000BAC0: D3B04006 1C209D06
	v_pk_mul_f32 v[4:5], v[4:5], v[116:117]                    // 00000000BAC8: D3B14004 1802E904
	v_pk_mul_f32 v[6:7], v[6:7], v[118:119]                    // 00000000BAD0: D3B14006 1802ED06
	v_pk_mul_f32 v[4:5], v[4:5], s[60:61]                      // 00000000BAD8: D3B14004 18007904
	v_pk_mul_f32 v[6:7], v[6:7], s[60:61]                      // 00000000BAE0: D3B14006 18007906
	v_exp_f32_e32 v4, v4                                       // 00000000BAE8: 7E084104
	v_exp_f32_e32 v5, v5                                       // 00000000BAEC: 7E0A4105
	v_exp_f32_e32 v6, v6                                       // 00000000BAF0: 7E0C4106
	v_exp_f32_e32 v7, v7                                       // 00000000BAF4: 7E0E4107
	v_add_f32_e64 v4, v4, 1.0                                  // 00000000BAF8: D1010004 0001E504
	v_add_f32_e64 v5, v5, 1.0                                  // 00000000BB00: D1010005 0001E505
	v_add_f32_e64 v6, v6, 1.0                                  // 00000000BB08: D1010006 0001E506
	v_add_f32_e64 v7, v7, 1.0                                  // 00000000BB10: D1010007 0001E507
	v_rcp_f32_e32 v4, v4                                       // 00000000BB18: 7E084504
	v_rcp_f32_e32 v5, v5                                       // 00000000BB1C: 7E0A4505
	v_rcp_f32_e32 v6, v6                                       // 00000000BB20: 7E0C4506
	v_rcp_f32_e32 v7, v7                                       // 00000000BB24: 7E0E4507
	v_mul_f32_e32 v116, v116, v4                               // 00000000BB28: 0AE80974
	v_mul_f32_e32 v117, v117, v5                               // 00000000BB2C: 0AEA0B75
	v_mul_f32_e32 v118, v118, v6                               // 00000000BB30: 0AEC0D76
	v_mul_f32_e32 v119, v119, v7                               // 00000000BB34: 0AEE0F77
	v_mul_f32_e32 v116, v116, v188                             // 00000000BB38: 0AE97974
	v_mul_f32_e32 v117, v117, v189                             // 00000000BB3C: 0AEB7B75
	v_mul_f32_e32 v118, v118, v190                             // 00000000BB40: 0AED7D76
	v_mul_f32_e32 v119, v119, v191                             // 00000000BB44: 0AEF7F77
	v_pk_mul_f32 v[4:5], v[120:121], v[120:121]                // 00000000BB48: D3B14004 1802F178
	v_pk_mul_f32 v[6:7], v[122:123], v[122:123]                // 00000000BB50: D3B14006 1802F57A
	v_pk_fma_f32 v[4:5], v[4:5], s[78:79], v[8:9]              // 00000000BB58: D3B04004 1C209D04
	v_pk_fma_f32 v[6:7], v[6:7], s[78:79], v[8:9]              // 00000000BB60: D3B04006 1C209D06
	v_pk_mul_f32 v[4:5], v[4:5], v[120:121]                    // 00000000BB68: D3B14004 1802F104
	v_pk_mul_f32 v[6:7], v[6:7], v[122:123]                    // 00000000BB70: D3B14006 1802F506
	v_pk_mul_f32 v[4:5], v[4:5], s[60:61]                      // 00000000BB78: D3B14004 18007904
	v_pk_mul_f32 v[6:7], v[6:7], s[60:61]                      // 00000000BB80: D3B14006 18007906
	v_exp_f32_e32 v4, v4                                       // 00000000BB88: 7E084104
	v_exp_f32_e32 v5, v5                                       // 00000000BB8C: 7E0A4105
	v_exp_f32_e32 v6, v6                                       // 00000000BB90: 7E0C4106
	v_exp_f32_e32 v7, v7                                       // 00000000BB94: 7E0E4107
	v_add_f32_e64 v4, v4, 1.0                                  // 00000000BB98: D1010004 0001E504
	v_add_f32_e64 v5, v5, 1.0                                  // 00000000BBA0: D1010005 0001E505
	v_add_f32_e64 v6, v6, 1.0                                  // 00000000BBA8: D1010006 0001E506
	v_add_f32_e64 v7, v7, 1.0                                  // 00000000BBB0: D1010007 0001E507
	v_rcp_f32_e32 v4, v4                                       // 00000000BBB8: 7E084504
	v_rcp_f32_e32 v5, v5                                       // 00000000BBBC: 7E0A4505
	v_rcp_f32_e32 v6, v6                                       // 00000000BBC0: 7E0C4506
	v_rcp_f32_e32 v7, v7                                       // 00000000BBC4: 7E0E4507
	v_mul_f32_e32 v120, v120, v4                               // 00000000BBC8: 0AF00978
	v_mul_f32_e32 v121, v121, v5                               // 00000000BBCC: 0AF20B79
	v_mul_f32_e32 v122, v122, v6                               // 00000000BBD0: 0AF40D7A
	v_mul_f32_e32 v123, v123, v7                               // 00000000BBD4: 0AF60F7B
	v_mul_f32_e32 v120, v120, v192                             // 00000000BBD8: 0AF18178
	v_mul_f32_e32 v121, v121, v193                             // 00000000BBDC: 0AF38379
	v_mul_f32_e32 v122, v122, v194                             // 00000000BBE0: 0AF5857A
	v_mul_f32_e32 v123, v123, v195                             // 00000000BBE4: 0AF7877B
	v_pk_mul_f32 v[4:5], v[124:125], v[124:125]                // 00000000BBE8: D3B14004 1802F97C
	v_pk_mul_f32 v[6:7], v[126:127], v[126:127]                // 00000000BBF0: D3B14006 1802FD7E
	v_pk_fma_f32 v[4:5], v[4:5], s[78:79], v[8:9]              // 00000000BBF8: D3B04004 1C209D04
	v_pk_fma_f32 v[6:7], v[6:7], s[78:79], v[8:9]              // 00000000BC00: D3B04006 1C209D06
	v_pk_mul_f32 v[4:5], v[4:5], v[124:125]                    // 00000000BC08: D3B14004 1802F904
	v_pk_mul_f32 v[6:7], v[6:7], v[126:127]                    // 00000000BC10: D3B14006 1802FD06
	v_pk_mul_f32 v[4:5], v[4:5], s[60:61]                      // 00000000BC18: D3B14004 18007904
	v_pk_mul_f32 v[6:7], v[6:7], s[60:61]                      // 00000000BC20: D3B14006 18007906
	v_exp_f32_e32 v4, v4                                       // 00000000BC28: 7E084104
	v_exp_f32_e32 v5, v5                                       // 00000000BC2C: 7E0A4105
	v_exp_f32_e32 v6, v6                                       // 00000000BC30: 7E0C4106
	v_exp_f32_e32 v7, v7                                       // 00000000BC34: 7E0E4107
	v_add_f32_e64 v4, v4, 1.0                                  // 00000000BC38: D1010004 0001E504
	v_add_f32_e64 v5, v5, 1.0                                  // 00000000BC40: D1010005 0001E505
	v_add_f32_e64 v6, v6, 1.0                                  // 00000000BC48: D1010006 0001E506
	v_add_f32_e64 v7, v7, 1.0                                  // 00000000BC50: D1010007 0001E507
	v_rcp_f32_e32 v4, v4                                       // 00000000BC58: 7E084504
	v_rcp_f32_e32 v5, v5                                       // 00000000BC5C: 7E0A4505
	v_rcp_f32_e32 v6, v6                                       // 00000000BC60: 7E0C4506
	v_rcp_f32_e32 v7, v7                                       // 00000000BC64: 7E0E4507
	v_mul_f32_e32 v124, v124, v4                               // 00000000BC68: 0AF8097C
	v_mul_f32_e32 v125, v125, v5                               // 00000000BC6C: 0AFA0B7D
	v_mul_f32_e32 v126, v126, v6                               // 00000000BC70: 0AFC0D7E
	v_mul_f32_e32 v127, v127, v7                               // 00000000BC74: 0AFE0F7F
	v_mul_f32_e32 v124, v124, v196                             // 00000000BC78: 0AF9897C
	v_mul_f32_e32 v125, v125, v197                             // 00000000BC7C: 0AFB8B7D
	v_mul_f32_e32 v126, v126, v198                             // 00000000BC80: 0AFD8D7E
	v_mul_f32_e32 v127, v127, v199                             // 00000000BC84: 0AFF8F7F
	v_pk_mul_f32 v[4:5], v[128:129], v[128:129]                // 00000000BC88: D3B14004 18030180
	v_pk_mul_f32 v[6:7], v[130:131], v[130:131]                // 00000000BC90: D3B14006 18030582
	v_pk_fma_f32 v[4:5], v[4:5], s[78:79], v[8:9]              // 00000000BC98: D3B04004 1C209D04
	v_pk_fma_f32 v[6:7], v[6:7], s[78:79], v[8:9]              // 00000000BCA0: D3B04006 1C209D06
	v_pk_mul_f32 v[4:5], v[4:5], v[128:129]                    // 00000000BCA8: D3B14004 18030104
	v_pk_mul_f32 v[6:7], v[6:7], v[130:131]                    // 00000000BCB0: D3B14006 18030506
	v_pk_mul_f32 v[4:5], v[4:5], s[60:61]                      // 00000000BCB8: D3B14004 18007904
	v_pk_mul_f32 v[6:7], v[6:7], s[60:61]                      // 00000000BCC0: D3B14006 18007906
	v_exp_f32_e32 v4, v4                                       // 00000000BCC8: 7E084104
	v_exp_f32_e32 v5, v5                                       // 00000000BCCC: 7E0A4105
	v_exp_f32_e32 v6, v6                                       // 00000000BCD0: 7E0C4106
	v_exp_f32_e32 v7, v7                                       // 00000000BCD4: 7E0E4107
	v_add_f32_e64 v4, v4, 1.0                                  // 00000000BCD8: D1010004 0001E504
	v_add_f32_e64 v5, v5, 1.0                                  // 00000000BCE0: D1010005 0001E505
	v_add_f32_e64 v6, v6, 1.0                                  // 00000000BCE8: D1010006 0001E506
	v_add_f32_e64 v7, v7, 1.0                                  // 00000000BCF0: D1010007 0001E507
	v_rcp_f32_e32 v4, v4                                       // 00000000BCF8: 7E084504
	v_rcp_f32_e32 v5, v5                                       // 00000000BCFC: 7E0A4505
	v_rcp_f32_e32 v6, v6                                       // 00000000BD00: 7E0C4506
	v_rcp_f32_e32 v7, v7                                       // 00000000BD04: 7E0E4507
	v_mul_f32_e32 v128, v128, v4                               // 00000000BD08: 0B000980
	v_mul_f32_e32 v129, v129, v5                               // 00000000BD0C: 0B020B81
	v_mul_f32_e32 v130, v130, v6                               // 00000000BD10: 0B040D82
	v_mul_f32_e32 v131, v131, v7                               // 00000000BD14: 0B060F83
	v_mul_f32_e32 v128, v128, v200                             // 00000000BD18: 0B019180
	v_mul_f32_e32 v129, v129, v201                             // 00000000BD1C: 0B039381
	v_mul_f32_e32 v130, v130, v202                             // 00000000BD20: 0B059582
	v_mul_f32_e32 v131, v131, v203                             // 00000000BD24: 0B079783
	v_pk_mul_f32 v[4:5], v[132:133], v[132:133]                // 00000000BD28: D3B14004 18030984
	v_pk_mul_f32 v[6:7], v[134:135], v[134:135]                // 00000000BD30: D3B14006 18030D86
	v_pk_fma_f32 v[4:5], v[4:5], s[78:79], v[8:9]              // 00000000BD38: D3B04004 1C209D04
	v_pk_fma_f32 v[6:7], v[6:7], s[78:79], v[8:9]              // 00000000BD40: D3B04006 1C209D06
	v_pk_mul_f32 v[4:5], v[4:5], v[132:133]                    // 00000000BD48: D3B14004 18030904
	v_pk_mul_f32 v[6:7], v[6:7], v[134:135]                    // 00000000BD50: D3B14006 18030D06
	v_pk_mul_f32 v[4:5], v[4:5], s[60:61]                      // 00000000BD58: D3B14004 18007904
	v_pk_mul_f32 v[6:7], v[6:7], s[60:61]                      // 00000000BD60: D3B14006 18007906
	v_exp_f32_e32 v4, v4                                       // 00000000BD68: 7E084104
	v_exp_f32_e32 v5, v5                                       // 00000000BD6C: 7E0A4105
	v_exp_f32_e32 v6, v6                                       // 00000000BD70: 7E0C4106
	v_exp_f32_e32 v7, v7                                       // 00000000BD74: 7E0E4107
	v_add_f32_e64 v4, v4, 1.0                                  // 00000000BD78: D1010004 0001E504
	v_add_f32_e64 v5, v5, 1.0                                  // 00000000BD80: D1010005 0001E505
	v_add_f32_e64 v6, v6, 1.0                                  // 00000000BD88: D1010006 0001E506
	v_add_f32_e64 v7, v7, 1.0                                  // 00000000BD90: D1010007 0001E507
	v_rcp_f32_e32 v4, v4                                       // 00000000BD98: 7E084504
	v_rcp_f32_e32 v5, v5                                       // 00000000BD9C: 7E0A4505
	v_rcp_f32_e32 v6, v6                                       // 00000000BDA0: 7E0C4506
	v_rcp_f32_e32 v7, v7                                       // 00000000BDA4: 7E0E4507
	v_mul_f32_e32 v132, v132, v4                               // 00000000BDA8: 0B080984
	v_mul_f32_e32 v133, v133, v5                               // 00000000BDAC: 0B0A0B85
	v_mul_f32_e32 v134, v134, v6                               // 00000000BDB0: 0B0C0D86
	v_mul_f32_e32 v135, v135, v7                               // 00000000BDB4: 0B0E0F87
	v_mul_f32_e32 v132, v132, v204                             // 00000000BDB8: 0B099984
	v_mul_f32_e32 v133, v133, v205                             // 00000000BDBC: 0B0B9B85
	v_mul_f32_e32 v134, v134, v206                             // 00000000BDC0: 0B0D9D86
	v_mul_f32_e32 v135, v135, v207                             // 00000000BDC4: 0B0F9F87
	v_pk_mul_f32 v[4:5], v[136:137], v[136:137]                // 00000000BDC8: D3B14004 18031188
	v_pk_mul_f32 v[6:7], v[138:139], v[138:139]                // 00000000BDD0: D3B14006 1803158A
	v_pk_fma_f32 v[4:5], v[4:5], s[78:79], v[8:9]              // 00000000BDD8: D3B04004 1C209D04
	v_pk_fma_f32 v[6:7], v[6:7], s[78:79], v[8:9]              // 00000000BDE0: D3B04006 1C209D06
	v_pk_mul_f32 v[4:5], v[4:5], v[136:137]                    // 00000000BDE8: D3B14004 18031104
	v_pk_mul_f32 v[6:7], v[6:7], v[138:139]                    // 00000000BDF0: D3B14006 18031506
	v_pk_mul_f32 v[4:5], v[4:5], s[60:61]                      // 00000000BDF8: D3B14004 18007904
	v_pk_mul_f32 v[6:7], v[6:7], s[60:61]                      // 00000000BE00: D3B14006 18007906
	v_exp_f32_e32 v4, v4                                       // 00000000BE08: 7E084104
	v_exp_f32_e32 v5, v5                                       // 00000000BE0C: 7E0A4105
	v_exp_f32_e32 v6, v6                                       // 00000000BE10: 7E0C4106
	v_exp_f32_e32 v7, v7                                       // 00000000BE14: 7E0E4107
	v_add_f32_e64 v4, v4, 1.0                                  // 00000000BE18: D1010004 0001E504
	v_add_f32_e64 v5, v5, 1.0                                  // 00000000BE20: D1010005 0001E505
	v_add_f32_e64 v6, v6, 1.0                                  // 00000000BE28: D1010006 0001E506
	v_add_f32_e64 v7, v7, 1.0                                  // 00000000BE30: D1010007 0001E507
	v_rcp_f32_e32 v4, v4                                       // 00000000BE38: 7E084504
	v_rcp_f32_e32 v5, v5                                       // 00000000BE3C: 7E0A4505
	v_rcp_f32_e32 v6, v6                                       // 00000000BE40: 7E0C4506
	v_rcp_f32_e32 v7, v7                                       // 00000000BE44: 7E0E4507
	v_mul_f32_e32 v136, v136, v4                               // 00000000BE48: 0B100988
	v_mul_f32_e32 v137, v137, v5                               // 00000000BE4C: 0B120B89
	v_mul_f32_e32 v138, v138, v6                               // 00000000BE50: 0B140D8A
	v_mul_f32_e32 v139, v139, v7                               // 00000000BE54: 0B160F8B
	v_mul_f32_e32 v136, v136, v208                             // 00000000BE58: 0B11A188
	v_mul_f32_e32 v137, v137, v209                             // 00000000BE5C: 0B13A389
	v_mul_f32_e32 v138, v138, v210                             // 00000000BE60: 0B15A58A
	v_mul_f32_e32 v139, v139, v211                             // 00000000BE64: 0B17A78B
	v_pk_mul_f32 v[4:5], v[140:141], v[140:141]                // 00000000BE68: D3B14004 1803198C
	v_pk_mul_f32 v[6:7], v[142:143], v[142:143]                // 00000000BE70: D3B14006 18031D8E
	v_pk_fma_f32 v[4:5], v[4:5], s[78:79], v[8:9]              // 00000000BE78: D3B04004 1C209D04
	v_pk_fma_f32 v[6:7], v[6:7], s[78:79], v[8:9]              // 00000000BE80: D3B04006 1C209D06
	v_pk_mul_f32 v[4:5], v[4:5], v[140:141]                    // 00000000BE88: D3B14004 18031904
	v_pk_mul_f32 v[6:7], v[6:7], v[142:143]                    // 00000000BE90: D3B14006 18031D06
	v_pk_mul_f32 v[4:5], v[4:5], s[60:61]                      // 00000000BE98: D3B14004 18007904
	v_pk_mul_f32 v[6:7], v[6:7], s[60:61]                      // 00000000BEA0: D3B14006 18007906
	v_exp_f32_e32 v4, v4                                       // 00000000BEA8: 7E084104
	v_exp_f32_e32 v5, v5                                       // 00000000BEAC: 7E0A4105
	v_exp_f32_e32 v6, v6                                       // 00000000BEB0: 7E0C4106
	v_exp_f32_e32 v7, v7                                       // 00000000BEB4: 7E0E4107
	v_add_f32_e64 v4, v4, 1.0                                  // 00000000BEB8: D1010004 0001E504
	v_add_f32_e64 v5, v5, 1.0                                  // 00000000BEC0: D1010005 0001E505
	v_add_f32_e64 v6, v6, 1.0                                  // 00000000BEC8: D1010006 0001E506
	v_add_f32_e64 v7, v7, 1.0                                  // 00000000BED0: D1010007 0001E507
	v_rcp_f32_e32 v4, v4                                       // 00000000BED8: 7E084504
	v_rcp_f32_e32 v5, v5                                       // 00000000BEDC: 7E0A4505
	v_rcp_f32_e32 v6, v6                                       // 00000000BEE0: 7E0C4506
	v_rcp_f32_e32 v7, v7                                       // 00000000BEE4: 7E0E4507
	v_mul_f32_e32 v140, v140, v4                               // 00000000BEE8: 0B18098C
	v_mul_f32_e32 v141, v141, v5                               // 00000000BEEC: 0B1A0B8D
	v_mul_f32_e32 v142, v142, v6                               // 00000000BEF0: 0B1C0D8E
	v_mul_f32_e32 v143, v143, v7                               // 00000000BEF4: 0B1E0F8F
	v_mul_f32_e32 v140, v140, v212                             // 00000000BEF8: 0B19A98C
	v_mul_f32_e32 v141, v141, v213                             // 00000000BEFC: 0B1BAB8D
	v_mul_f32_e32 v142, v142, v214                             // 00000000BF00: 0B1DAD8E
	v_mul_f32_e32 v143, v143, v215                             // 00000000BF04: 0B1FAF8F
	v_pk_mul_f32 v[4:5], v[144:145], v[144:145]                // 00000000BF08: D3B14004 18032190
	v_pk_mul_f32 v[6:7], v[146:147], v[146:147]                // 00000000BF10: D3B14006 18032592
	v_pk_fma_f32 v[4:5], v[4:5], s[78:79], v[8:9]              // 00000000BF18: D3B04004 1C209D04
	v_pk_fma_f32 v[6:7], v[6:7], s[78:79], v[8:9]              // 00000000BF20: D3B04006 1C209D06
	v_pk_mul_f32 v[4:5], v[4:5], v[144:145]                    // 00000000BF28: D3B14004 18032104
	v_pk_mul_f32 v[6:7], v[6:7], v[146:147]                    // 00000000BF30: D3B14006 18032506
	v_pk_mul_f32 v[4:5], v[4:5], s[60:61]                      // 00000000BF38: D3B14004 18007904
	v_pk_mul_f32 v[6:7], v[6:7], s[60:61]                      // 00000000BF40: D3B14006 18007906
	v_exp_f32_e32 v4, v4                                       // 00000000BF48: 7E084104
	v_exp_f32_e32 v5, v5                                       // 00000000BF4C: 7E0A4105
	v_exp_f32_e32 v6, v6                                       // 00000000BF50: 7E0C4106
	v_exp_f32_e32 v7, v7                                       // 00000000BF54: 7E0E4107
	v_add_f32_e64 v4, v4, 1.0                                  // 00000000BF58: D1010004 0001E504
	v_add_f32_e64 v5, v5, 1.0                                  // 00000000BF60: D1010005 0001E505
	v_add_f32_e64 v6, v6, 1.0                                  // 00000000BF68: D1010006 0001E506
	v_add_f32_e64 v7, v7, 1.0                                  // 00000000BF70: D1010007 0001E507
	v_rcp_f32_e32 v4, v4                                       // 00000000BF78: 7E084504
	v_rcp_f32_e32 v5, v5                                       // 00000000BF7C: 7E0A4505
	v_rcp_f32_e32 v6, v6                                       // 00000000BF80: 7E0C4506
	v_rcp_f32_e32 v7, v7                                       // 00000000BF84: 7E0E4507
	v_mul_f32_e32 v144, v144, v4                               // 00000000BF88: 0B200990
	v_mul_f32_e32 v145, v145, v5                               // 00000000BF8C: 0B220B91
	v_mul_f32_e32 v146, v146, v6                               // 00000000BF90: 0B240D92
	v_mul_f32_e32 v147, v147, v7                               // 00000000BF94: 0B260F93
	v_mul_f32_e32 v144, v144, v216                             // 00000000BF98: 0B21B190
	v_mul_f32_e32 v145, v145, v217                             // 00000000BF9C: 0B23B391
	v_mul_f32_e32 v146, v146, v218                             // 00000000BFA0: 0B25B592
	v_mul_f32_e32 v147, v147, v219                             // 00000000BFA4: 0B27B793
	v_pk_mul_f32 v[4:5], v[148:149], v[148:149]                // 00000000BFA8: D3B14004 18032994
	v_pk_mul_f32 v[6:7], v[150:151], v[150:151]                // 00000000BFB0: D3B14006 18032D96
	v_pk_fma_f32 v[4:5], v[4:5], s[78:79], v[8:9]              // 00000000BFB8: D3B04004 1C209D04
	v_pk_fma_f32 v[6:7], v[6:7], s[78:79], v[8:9]              // 00000000BFC0: D3B04006 1C209D06
	v_pk_mul_f32 v[4:5], v[4:5], v[148:149]                    // 00000000BFC8: D3B14004 18032904
	v_pk_mul_f32 v[6:7], v[6:7], v[150:151]                    // 00000000BFD0: D3B14006 18032D06
	v_pk_mul_f32 v[4:5], v[4:5], s[60:61]                      // 00000000BFD8: D3B14004 18007904
	v_pk_mul_f32 v[6:7], v[6:7], s[60:61]                      // 00000000BFE0: D3B14006 18007906
	v_exp_f32_e32 v4, v4                                       // 00000000BFE8: 7E084104
	v_exp_f32_e32 v5, v5                                       // 00000000BFEC: 7E0A4105
	v_exp_f32_e32 v6, v6                                       // 00000000BFF0: 7E0C4106
	v_exp_f32_e32 v7, v7                                       // 00000000BFF4: 7E0E4107
	v_add_f32_e64 v4, v4, 1.0                                  // 00000000BFF8: D1010004 0001E504
	v_add_f32_e64 v5, v5, 1.0                                  // 00000000C000: D1010005 0001E505
	v_add_f32_e64 v6, v6, 1.0                                  // 00000000C008: D1010006 0001E506
	v_add_f32_e64 v7, v7, 1.0                                  // 00000000C010: D1010007 0001E507
	v_rcp_f32_e32 v4, v4                                       // 00000000C018: 7E084504
	v_rcp_f32_e32 v5, v5                                       // 00000000C01C: 7E0A4505
	v_rcp_f32_e32 v6, v6                                       // 00000000C020: 7E0C4506
	v_rcp_f32_e32 v7, v7                                       // 00000000C024: 7E0E4507
	v_mul_f32_e32 v148, v148, v4                               // 00000000C028: 0B280994
	v_mul_f32_e32 v149, v149, v5                               // 00000000C02C: 0B2A0B95
	v_mul_f32_e32 v150, v150, v6                               // 00000000C030: 0B2C0D96
	v_mul_f32_e32 v151, v151, v7                               // 00000000C034: 0B2E0F97
	v_mul_f32_e32 v148, v148, v220                             // 00000000C038: 0B29B994
	v_mul_f32_e32 v149, v149, v221                             // 00000000C03C: 0B2BBB95
	v_mul_f32_e32 v150, v150, v222                             // 00000000C040: 0B2DBD96
	v_mul_f32_e32 v151, v151, v223                             // 00000000C044: 0B2FBF97
	v_pk_mul_f32 v[4:5], v[152:153], v[152:153]                // 00000000C048: D3B14004 18033198
	v_pk_mul_f32 v[6:7], v[154:155], v[154:155]                // 00000000C050: D3B14006 1803359A
	v_pk_fma_f32 v[4:5], v[4:5], s[78:79], v[8:9]              // 00000000C058: D3B04004 1C209D04
	v_pk_fma_f32 v[6:7], v[6:7], s[78:79], v[8:9]              // 00000000C060: D3B04006 1C209D06
	v_pk_mul_f32 v[4:5], v[4:5], v[152:153]                    // 00000000C068: D3B14004 18033104
	v_pk_mul_f32 v[6:7], v[6:7], v[154:155]                    // 00000000C070: D3B14006 18033506
	v_pk_mul_f32 v[4:5], v[4:5], s[60:61]                      // 00000000C078: D3B14004 18007904
	v_pk_mul_f32 v[6:7], v[6:7], s[60:61]                      // 00000000C080: D3B14006 18007906
	v_exp_f32_e32 v4, v4                                       // 00000000C088: 7E084104
	v_exp_f32_e32 v5, v5                                       // 00000000C08C: 7E0A4105
	v_exp_f32_e32 v6, v6                                       // 00000000C090: 7E0C4106
	v_exp_f32_e32 v7, v7                                       // 00000000C094: 7E0E4107
	v_add_f32_e64 v4, v4, 1.0                                  // 00000000C098: D1010004 0001E504
	v_add_f32_e64 v5, v5, 1.0                                  // 00000000C0A0: D1010005 0001E505
	v_add_f32_e64 v6, v6, 1.0                                  // 00000000C0A8: D1010006 0001E506
	v_add_f32_e64 v7, v7, 1.0                                  // 00000000C0B0: D1010007 0001E507
	v_rcp_f32_e32 v4, v4                                       // 00000000C0B8: 7E084504
	v_rcp_f32_e32 v5, v5                                       // 00000000C0BC: 7E0A4505
	v_rcp_f32_e32 v6, v6                                       // 00000000C0C0: 7E0C4506
	v_rcp_f32_e32 v7, v7                                       // 00000000C0C4: 7E0E4507
	v_mul_f32_e32 v152, v152, v4                               // 00000000C0C8: 0B300998
	v_mul_f32_e32 v153, v153, v5                               // 00000000C0CC: 0B320B99
	v_mul_f32_e32 v154, v154, v6                               // 00000000C0D0: 0B340D9A
	v_mul_f32_e32 v155, v155, v7                               // 00000000C0D4: 0B360F9B
	v_mul_f32_e32 v152, v152, v224                             // 00000000C0D8: 0B31C198
	v_mul_f32_e32 v153, v153, v225                             // 00000000C0DC: 0B33C399
	v_mul_f32_e32 v154, v154, v226                             // 00000000C0E0: 0B35C59A
	v_mul_f32_e32 v155, v155, v227                             // 00000000C0E4: 0B37C79B
	s_branch label_27FE                                        // 00000000C0E8: BF820240

000000000000c0ec <label_25BE>:
	v_mul_f32_e64 v4, -v84, s6                                 // 00000000C0EC: D1050004 20000D54
	v_mul_f32_e64 v5, -v85, s6                                 // 00000000C0F4: D1050005 20000D55
	v_mul_f32_e64 v6, -v86, s6                                 // 00000000C0FC: D1050006 20000D56
	v_mul_f32_e64 v7, -v87, s6                                 // 00000000C104: D1050007 20000D57
	v_exp_f32_e32 v4, v4                                       // 00000000C10C: 7E084104
	v_exp_f32_e32 v5, v5                                       // 00000000C110: 7E0A4105
	v_exp_f32_e32 v6, v6                                       // 00000000C114: 7E0C4106
	v_exp_f32_e32 v7, v7                                       // 00000000C118: 7E0E4107
	v_add_f32_e64 v4, v4, 1.0                                  // 00000000C11C: D1010004 0001E504
	v_add_f32_e64 v5, v5, 1.0                                  // 00000000C124: D1010005 0001E505
	v_add_f32_e64 v6, v6, 1.0                                  // 00000000C12C: D1010006 0001E506
	v_add_f32_e64 v7, v7, 1.0                                  // 00000000C134: D1010007 0001E507
	v_rcp_f32_e32 v4, v4                                       // 00000000C13C: 7E084504
	v_rcp_f32_e32 v5, v5                                       // 00000000C140: 7E0A4505
	v_rcp_f32_e32 v6, v6                                       // 00000000C144: 7E0C4506
	v_rcp_f32_e32 v7, v7                                       // 00000000C148: 7E0E4507
	v_mul_f32_e32 v84, v84, v4                                 // 00000000C14C: 0AA80954
	v_mul_f32_e32 v85, v85, v5                                 // 00000000C150: 0AAA0B55
	v_mul_f32_e32 v86, v86, v6                                 // 00000000C154: 0AAC0D56
	v_mul_f32_e32 v87, v87, v7                                 // 00000000C158: 0AAE0F57
	v_mul_f32_e32 v84, v84, v156                               // 00000000C15C: 0AA93954
	v_mul_f32_e32 v85, v85, v157                               // 00000000C160: 0AAB3B55
	v_mul_f32_e32 v86, v86, v158                               // 00000000C164: 0AAD3D56
	v_mul_f32_e32 v87, v87, v159                               // 00000000C168: 0AAF3F57
	v_mul_f32_e64 v4, -v88, s6                                 // 00000000C16C: D1050004 20000D58
	v_mul_f32_e64 v5, -v89, s6                                 // 00000000C174: D1050005 20000D59
	v_mul_f32_e64 v6, -v90, s6                                 // 00000000C17C: D1050006 20000D5A
	v_mul_f32_e64 v7, -v91, s6                                 // 00000000C184: D1050007 20000D5B
	v_exp_f32_e32 v4, v4                                       // 00000000C18C: 7E084104
	v_exp_f32_e32 v5, v5                                       // 00000000C190: 7E0A4105
	v_exp_f32_e32 v6, v6                                       // 00000000C194: 7E0C4106
	v_exp_f32_e32 v7, v7                                       // 00000000C198: 7E0E4107
	v_add_f32_e64 v4, v4, 1.0                                  // 00000000C19C: D1010004 0001E504
	v_add_f32_e64 v5, v5, 1.0                                  // 00000000C1A4: D1010005 0001E505
	v_add_f32_e64 v6, v6, 1.0                                  // 00000000C1AC: D1010006 0001E506
	v_add_f32_e64 v7, v7, 1.0                                  // 00000000C1B4: D1010007 0001E507
	v_rcp_f32_e32 v4, v4                                       // 00000000C1BC: 7E084504
	v_rcp_f32_e32 v5, v5                                       // 00000000C1C0: 7E0A4505
	v_rcp_f32_e32 v6, v6                                       // 00000000C1C4: 7E0C4506
	v_rcp_f32_e32 v7, v7                                       // 00000000C1C8: 7E0E4507
	v_mul_f32_e32 v88, v88, v4                                 // 00000000C1CC: 0AB00958
	v_mul_f32_e32 v89, v89, v5                                 // 00000000C1D0: 0AB20B59
	v_mul_f32_e32 v90, v90, v6                                 // 00000000C1D4: 0AB40D5A
	v_mul_f32_e32 v91, v91, v7                                 // 00000000C1D8: 0AB60F5B
	v_mul_f32_e32 v88, v88, v160                               // 00000000C1DC: 0AB14158
	v_mul_f32_e32 v89, v89, v161                               // 00000000C1E0: 0AB34359
	v_mul_f32_e32 v90, v90, v162                               // 00000000C1E4: 0AB5455A
	v_mul_f32_e32 v91, v91, v163                               // 00000000C1E8: 0AB7475B
	v_mul_f32_e64 v4, -v92, s6                                 // 00000000C1EC: D1050004 20000D5C
	v_mul_f32_e64 v5, -v93, s6                                 // 00000000C1F4: D1050005 20000D5D
	v_mul_f32_e64 v6, -v94, s6                                 // 00000000C1FC: D1050006 20000D5E
	v_mul_f32_e64 v7, -v95, s6                                 // 00000000C204: D1050007 20000D5F
	v_exp_f32_e32 v4, v4                                       // 00000000C20C: 7E084104
	v_exp_f32_e32 v5, v5                                       // 00000000C210: 7E0A4105
	v_exp_f32_e32 v6, v6                                       // 00000000C214: 7E0C4106
	v_exp_f32_e32 v7, v7                                       // 00000000C218: 7E0E4107
	v_add_f32_e64 v4, v4, 1.0                                  // 00000000C21C: D1010004 0001E504
	v_add_f32_e64 v5, v5, 1.0                                  // 00000000C224: D1010005 0001E505
	v_add_f32_e64 v6, v6, 1.0                                  // 00000000C22C: D1010006 0001E506
	v_add_f32_e64 v7, v7, 1.0                                  // 00000000C234: D1010007 0001E507
	v_rcp_f32_e32 v4, v4                                       // 00000000C23C: 7E084504
	v_rcp_f32_e32 v5, v5                                       // 00000000C240: 7E0A4505
	v_rcp_f32_e32 v6, v6                                       // 00000000C244: 7E0C4506
	v_rcp_f32_e32 v7, v7                                       // 00000000C248: 7E0E4507
	v_mul_f32_e32 v92, v92, v4                                 // 00000000C24C: 0AB8095C
	v_mul_f32_e32 v93, v93, v5                                 // 00000000C250: 0ABA0B5D
	v_mul_f32_e32 v94, v94, v6                                 // 00000000C254: 0ABC0D5E
	v_mul_f32_e32 v95, v95, v7                                 // 00000000C258: 0ABE0F5F
	v_mul_f32_e32 v92, v92, v164                               // 00000000C25C: 0AB9495C
	v_mul_f32_e32 v93, v93, v165                               // 00000000C260: 0ABB4B5D
	v_mul_f32_e32 v94, v94, v166                               // 00000000C264: 0ABD4D5E
	v_mul_f32_e32 v95, v95, v167                               // 00000000C268: 0ABF4F5F
	v_mul_f32_e64 v4, -v96, s6                                 // 00000000C26C: D1050004 20000D60
	v_mul_f32_e64 v5, -v97, s6                                 // 00000000C274: D1050005 20000D61
	v_mul_f32_e64 v6, -v98, s6                                 // 00000000C27C: D1050006 20000D62
	v_mul_f32_e64 v7, -v99, s6                                 // 00000000C284: D1050007 20000D63
	v_exp_f32_e32 v4, v4                                       // 00000000C28C: 7E084104
	v_exp_f32_e32 v5, v5                                       // 00000000C290: 7E0A4105
	v_exp_f32_e32 v6, v6                                       // 00000000C294: 7E0C4106
	v_exp_f32_e32 v7, v7                                       // 00000000C298: 7E0E4107
	v_add_f32_e64 v4, v4, 1.0                                  // 00000000C29C: D1010004 0001E504
	v_add_f32_e64 v5, v5, 1.0                                  // 00000000C2A4: D1010005 0001E505
	v_add_f32_e64 v6, v6, 1.0                                  // 00000000C2AC: D1010006 0001E506
	v_add_f32_e64 v7, v7, 1.0                                  // 00000000C2B4: D1010007 0001E507
	v_rcp_f32_e32 v4, v4                                       // 00000000C2BC: 7E084504
	v_rcp_f32_e32 v5, v5                                       // 00000000C2C0: 7E0A4505
	v_rcp_f32_e32 v6, v6                                       // 00000000C2C4: 7E0C4506
	v_rcp_f32_e32 v7, v7                                       // 00000000C2C8: 7E0E4507
	v_mul_f32_e32 v96, v96, v4                                 // 00000000C2CC: 0AC00960
	v_mul_f32_e32 v97, v97, v5                                 // 00000000C2D0: 0AC20B61
	v_mul_f32_e32 v98, v98, v6                                 // 00000000C2D4: 0AC40D62
	v_mul_f32_e32 v99, v99, v7                                 // 00000000C2D8: 0AC60F63
	v_mul_f32_e32 v96, v96, v168                               // 00000000C2DC: 0AC15160
	v_mul_f32_e32 v97, v97, v169                               // 00000000C2E0: 0AC35361
	v_mul_f32_e32 v98, v98, v170                               // 00000000C2E4: 0AC55562
	v_mul_f32_e32 v99, v99, v171                               // 00000000C2E8: 0AC75763
	v_mul_f32_e64 v4, -v100, s6                                // 00000000C2EC: D1050004 20000D64
	v_mul_f32_e64 v5, -v101, s6                                // 00000000C2F4: D1050005 20000D65
	v_mul_f32_e64 v6, -v102, s6                                // 00000000C2FC: D1050006 20000D66
	v_mul_f32_e64 v7, -v103, s6                                // 00000000C304: D1050007 20000D67
	v_exp_f32_e32 v4, v4                                       // 00000000C30C: 7E084104
	v_exp_f32_e32 v5, v5                                       // 00000000C310: 7E0A4105
	v_exp_f32_e32 v6, v6                                       // 00000000C314: 7E0C4106
	v_exp_f32_e32 v7, v7                                       // 00000000C318: 7E0E4107
	v_add_f32_e64 v4, v4, 1.0                                  // 00000000C31C: D1010004 0001E504
	v_add_f32_e64 v5, v5, 1.0                                  // 00000000C324: D1010005 0001E505
	v_add_f32_e64 v6, v6, 1.0                                  // 00000000C32C: D1010006 0001E506
	v_add_f32_e64 v7, v7, 1.0                                  // 00000000C334: D1010007 0001E507
	v_rcp_f32_e32 v4, v4                                       // 00000000C33C: 7E084504
	v_rcp_f32_e32 v5, v5                                       // 00000000C340: 7E0A4505
	v_rcp_f32_e32 v6, v6                                       // 00000000C344: 7E0C4506
	v_rcp_f32_e32 v7, v7                                       // 00000000C348: 7E0E4507
	v_mul_f32_e32 v100, v100, v4                               // 00000000C34C: 0AC80964
	v_mul_f32_e32 v101, v101, v5                               // 00000000C350: 0ACA0B65
	v_mul_f32_e32 v102, v102, v6                               // 00000000C354: 0ACC0D66
	v_mul_f32_e32 v103, v103, v7                               // 00000000C358: 0ACE0F67
	v_mul_f32_e32 v100, v100, v172                             // 00000000C35C: 0AC95964
	v_mul_f32_e32 v101, v101, v173                             // 00000000C360: 0ACB5B65
	v_mul_f32_e32 v102, v102, v174                             // 00000000C364: 0ACD5D66
	v_mul_f32_e32 v103, v103, v175                             // 00000000C368: 0ACF5F67
	v_mul_f32_e64 v4, -v104, s6                                // 00000000C36C: D1050004 20000D68
	v_mul_f32_e64 v5, -v105, s6                                // 00000000C374: D1050005 20000D69
	v_mul_f32_e64 v6, -v106, s6                                // 00000000C37C: D1050006 20000D6A
	v_mul_f32_e64 v7, -v107, s6                                // 00000000C384: D1050007 20000D6B
	v_exp_f32_e32 v4, v4                                       // 00000000C38C: 7E084104
	v_exp_f32_e32 v5, v5                                       // 00000000C390: 7E0A4105
	v_exp_f32_e32 v6, v6                                       // 00000000C394: 7E0C4106
	v_exp_f32_e32 v7, v7                                       // 00000000C398: 7E0E4107
	v_add_f32_e64 v4, v4, 1.0                                  // 00000000C39C: D1010004 0001E504
	v_add_f32_e64 v5, v5, 1.0                                  // 00000000C3A4: D1010005 0001E505
	v_add_f32_e64 v6, v6, 1.0                                  // 00000000C3AC: D1010006 0001E506
	v_add_f32_e64 v7, v7, 1.0                                  // 00000000C3B4: D1010007 0001E507
	v_rcp_f32_e32 v4, v4                                       // 00000000C3BC: 7E084504
	v_rcp_f32_e32 v5, v5                                       // 00000000C3C0: 7E0A4505
	v_rcp_f32_e32 v6, v6                                       // 00000000C3C4: 7E0C4506
	v_rcp_f32_e32 v7, v7                                       // 00000000C3C8: 7E0E4507
	v_mul_f32_e32 v104, v104, v4                               // 00000000C3CC: 0AD00968
	v_mul_f32_e32 v105, v105, v5                               // 00000000C3D0: 0AD20B69
	v_mul_f32_e32 v106, v106, v6                               // 00000000C3D4: 0AD40D6A
	v_mul_f32_e32 v107, v107, v7                               // 00000000C3D8: 0AD60F6B
	v_mul_f32_e32 v104, v104, v176                             // 00000000C3DC: 0AD16168
	v_mul_f32_e32 v105, v105, v177                             // 00000000C3E0: 0AD36369
	v_mul_f32_e32 v106, v106, v178                             // 00000000C3E4: 0AD5656A
	v_mul_f32_e32 v107, v107, v179                             // 00000000C3E8: 0AD7676B
	v_mul_f32_e64 v4, -v108, s6                                // 00000000C3EC: D1050004 20000D6C
	v_mul_f32_e64 v5, -v109, s6                                // 00000000C3F4: D1050005 20000D6D
	v_mul_f32_e64 v6, -v110, s6                                // 00000000C3FC: D1050006 20000D6E
	v_mul_f32_e64 v7, -v111, s6                                // 00000000C404: D1050007 20000D6F
	v_exp_f32_e32 v4, v4                                       // 00000000C40C: 7E084104
	v_exp_f32_e32 v5, v5                                       // 00000000C410: 7E0A4105
	v_exp_f32_e32 v6, v6                                       // 00000000C414: 7E0C4106
	v_exp_f32_e32 v7, v7                                       // 00000000C418: 7E0E4107
	v_add_f32_e64 v4, v4, 1.0                                  // 00000000C41C: D1010004 0001E504
	v_add_f32_e64 v5, v5, 1.0                                  // 00000000C424: D1010005 0001E505
	v_add_f32_e64 v6, v6, 1.0                                  // 00000000C42C: D1010006 0001E506
	v_add_f32_e64 v7, v7, 1.0                                  // 00000000C434: D1010007 0001E507
	v_rcp_f32_e32 v4, v4                                       // 00000000C43C: 7E084504
	v_rcp_f32_e32 v5, v5                                       // 00000000C440: 7E0A4505
	v_rcp_f32_e32 v6, v6                                       // 00000000C444: 7E0C4506
	v_rcp_f32_e32 v7, v7                                       // 00000000C448: 7E0E4507
	v_mul_f32_e32 v108, v108, v4                               // 00000000C44C: 0AD8096C
	v_mul_f32_e32 v109, v109, v5                               // 00000000C450: 0ADA0B6D
	v_mul_f32_e32 v110, v110, v6                               // 00000000C454: 0ADC0D6E
	v_mul_f32_e32 v111, v111, v7                               // 00000000C458: 0ADE0F6F
	v_mul_f32_e32 v108, v108, v180                             // 00000000C45C: 0AD9696C
	v_mul_f32_e32 v109, v109, v181                             // 00000000C460: 0ADB6B6D
	v_mul_f32_e32 v110, v110, v182                             // 00000000C464: 0ADD6D6E
	v_mul_f32_e32 v111, v111, v183                             // 00000000C468: 0ADF6F6F
	v_mul_f32_e64 v4, -v112, s6                                // 00000000C46C: D1050004 20000D70
	v_mul_f32_e64 v5, -v113, s6                                // 00000000C474: D1050005 20000D71
	v_mul_f32_e64 v6, -v114, s6                                // 00000000C47C: D1050006 20000D72
	v_mul_f32_e64 v7, -v115, s6                                // 00000000C484: D1050007 20000D73
	v_exp_f32_e32 v4, v4                                       // 00000000C48C: 7E084104
	v_exp_f32_e32 v5, v5                                       // 00000000C490: 7E0A4105
	v_exp_f32_e32 v6, v6                                       // 00000000C494: 7E0C4106
	v_exp_f32_e32 v7, v7                                       // 00000000C498: 7E0E4107
	v_add_f32_e64 v4, v4, 1.0                                  // 00000000C49C: D1010004 0001E504
	v_add_f32_e64 v5, v5, 1.0                                  // 00000000C4A4: D1010005 0001E505
	v_add_f32_e64 v6, v6, 1.0                                  // 00000000C4AC: D1010006 0001E506
	v_add_f32_e64 v7, v7, 1.0                                  // 00000000C4B4: D1010007 0001E507
	v_rcp_f32_e32 v4, v4                                       // 00000000C4BC: 7E084504
	v_rcp_f32_e32 v5, v5                                       // 00000000C4C0: 7E0A4505
	v_rcp_f32_e32 v6, v6                                       // 00000000C4C4: 7E0C4506
	v_rcp_f32_e32 v7, v7                                       // 00000000C4C8: 7E0E4507
	v_mul_f32_e32 v112, v112, v4                               // 00000000C4CC: 0AE00970
	v_mul_f32_e32 v113, v113, v5                               // 00000000C4D0: 0AE20B71
	v_mul_f32_e32 v114, v114, v6                               // 00000000C4D4: 0AE40D72
	v_mul_f32_e32 v115, v115, v7                               // 00000000C4D8: 0AE60F73
	v_mul_f32_e32 v112, v112, v184                             // 00000000C4DC: 0AE17170
	v_mul_f32_e32 v113, v113, v185                             // 00000000C4E0: 0AE37371
	v_mul_f32_e32 v114, v114, v186                             // 00000000C4E4: 0AE57572
	v_mul_f32_e32 v115, v115, v187                             // 00000000C4E8: 0AE77773
	v_mul_f32_e64 v4, -v116, s6                                // 00000000C4EC: D1050004 20000D74
	v_mul_f32_e64 v5, -v117, s6                                // 00000000C4F4: D1050005 20000D75
	v_mul_f32_e64 v6, -v118, s6                                // 00000000C4FC: D1050006 20000D76
	v_mul_f32_e64 v7, -v119, s6                                // 00000000C504: D1050007 20000D77
	v_exp_f32_e32 v4, v4                                       // 00000000C50C: 7E084104
	v_exp_f32_e32 v5, v5                                       // 00000000C510: 7E0A4105
	v_exp_f32_e32 v6, v6                                       // 00000000C514: 7E0C4106
	v_exp_f32_e32 v7, v7                                       // 00000000C518: 7E0E4107
	v_add_f32_e64 v4, v4, 1.0                                  // 00000000C51C: D1010004 0001E504
	v_add_f32_e64 v5, v5, 1.0                                  // 00000000C524: D1010005 0001E505
	v_add_f32_e64 v6, v6, 1.0                                  // 00000000C52C: D1010006 0001E506
	v_add_f32_e64 v7, v7, 1.0                                  // 00000000C534: D1010007 0001E507
	v_rcp_f32_e32 v4, v4                                       // 00000000C53C: 7E084504
	v_rcp_f32_e32 v5, v5                                       // 00000000C540: 7E0A4505
	v_rcp_f32_e32 v6, v6                                       // 00000000C544: 7E0C4506
	v_rcp_f32_e32 v7, v7                                       // 00000000C548: 7E0E4507
	v_mul_f32_e32 v116, v116, v4                               // 00000000C54C: 0AE80974
	v_mul_f32_e32 v117, v117, v5                               // 00000000C550: 0AEA0B75
	v_mul_f32_e32 v118, v118, v6                               // 00000000C554: 0AEC0D76
	v_mul_f32_e32 v119, v119, v7                               // 00000000C558: 0AEE0F77
	v_mul_f32_e32 v116, v116, v188                             // 00000000C55C: 0AE97974
	v_mul_f32_e32 v117, v117, v189                             // 00000000C560: 0AEB7B75
	v_mul_f32_e32 v118, v118, v190                             // 00000000C564: 0AED7D76
	v_mul_f32_e32 v119, v119, v191                             // 00000000C568: 0AEF7F77
	v_mul_f32_e64 v4, -v120, s6                                // 00000000C56C: D1050004 20000D78
	v_mul_f32_e64 v5, -v121, s6                                // 00000000C574: D1050005 20000D79
	v_mul_f32_e64 v6, -v122, s6                                // 00000000C57C: D1050006 20000D7A
	v_mul_f32_e64 v7, -v123, s6                                // 00000000C584: D1050007 20000D7B
	v_exp_f32_e32 v4, v4                                       // 00000000C58C: 7E084104
	v_exp_f32_e32 v5, v5                                       // 00000000C590: 7E0A4105
	v_exp_f32_e32 v6, v6                                       // 00000000C594: 7E0C4106
	v_exp_f32_e32 v7, v7                                       // 00000000C598: 7E0E4107
	v_add_f32_e64 v4, v4, 1.0                                  // 00000000C59C: D1010004 0001E504
	v_add_f32_e64 v5, v5, 1.0                                  // 00000000C5A4: D1010005 0001E505
	v_add_f32_e64 v6, v6, 1.0                                  // 00000000C5AC: D1010006 0001E506
	v_add_f32_e64 v7, v7, 1.0                                  // 00000000C5B4: D1010007 0001E507
	v_rcp_f32_e32 v4, v4                                       // 00000000C5BC: 7E084504
	v_rcp_f32_e32 v5, v5                                       // 00000000C5C0: 7E0A4505
	v_rcp_f32_e32 v6, v6                                       // 00000000C5C4: 7E0C4506
	v_rcp_f32_e32 v7, v7                                       // 00000000C5C8: 7E0E4507
	v_mul_f32_e32 v120, v120, v4                               // 00000000C5CC: 0AF00978
	v_mul_f32_e32 v121, v121, v5                               // 00000000C5D0: 0AF20B79
	v_mul_f32_e32 v122, v122, v6                               // 00000000C5D4: 0AF40D7A
	v_mul_f32_e32 v123, v123, v7                               // 00000000C5D8: 0AF60F7B
	v_mul_f32_e32 v120, v120, v192                             // 00000000C5DC: 0AF18178
	v_mul_f32_e32 v121, v121, v193                             // 00000000C5E0: 0AF38379
	v_mul_f32_e32 v122, v122, v194                             // 00000000C5E4: 0AF5857A
	v_mul_f32_e32 v123, v123, v195                             // 00000000C5E8: 0AF7877B
	v_mul_f32_e64 v4, -v124, s6                                // 00000000C5EC: D1050004 20000D7C
	v_mul_f32_e64 v5, -v125, s6                                // 00000000C5F4: D1050005 20000D7D
	v_mul_f32_e64 v6, -v126, s6                                // 00000000C5FC: D1050006 20000D7E
	v_mul_f32_e64 v7, -v127, s6                                // 00000000C604: D1050007 20000D7F
	v_exp_f32_e32 v4, v4                                       // 00000000C60C: 7E084104
	v_exp_f32_e32 v5, v5                                       // 00000000C610: 7E0A4105
	v_exp_f32_e32 v6, v6                                       // 00000000C614: 7E0C4106
	v_exp_f32_e32 v7, v7                                       // 00000000C618: 7E0E4107
	v_add_f32_e64 v4, v4, 1.0                                  // 00000000C61C: D1010004 0001E504
	v_add_f32_e64 v5, v5, 1.0                                  // 00000000C624: D1010005 0001E505
	v_add_f32_e64 v6, v6, 1.0                                  // 00000000C62C: D1010006 0001E506
	v_add_f32_e64 v7, v7, 1.0                                  // 00000000C634: D1010007 0001E507
	v_rcp_f32_e32 v4, v4                                       // 00000000C63C: 7E084504
	v_rcp_f32_e32 v5, v5                                       // 00000000C640: 7E0A4505
	v_rcp_f32_e32 v6, v6                                       // 00000000C644: 7E0C4506
	v_rcp_f32_e32 v7, v7                                       // 00000000C648: 7E0E4507
	v_mul_f32_e32 v124, v124, v4                               // 00000000C64C: 0AF8097C
	v_mul_f32_e32 v125, v125, v5                               // 00000000C650: 0AFA0B7D
	v_mul_f32_e32 v126, v126, v6                               // 00000000C654: 0AFC0D7E
	v_mul_f32_e32 v127, v127, v7                               // 00000000C658: 0AFE0F7F
	v_mul_f32_e32 v124, v124, v196                             // 00000000C65C: 0AF9897C
	v_mul_f32_e32 v125, v125, v197                             // 00000000C660: 0AFB8B7D
	v_mul_f32_e32 v126, v126, v198                             // 00000000C664: 0AFD8D7E
	v_mul_f32_e32 v127, v127, v199                             // 00000000C668: 0AFF8F7F
	v_mul_f32_e64 v4, -v128, s6                                // 00000000C66C: D1050004 20000D80
	v_mul_f32_e64 v5, -v129, s6                                // 00000000C674: D1050005 20000D81
	v_mul_f32_e64 v6, -v130, s6                                // 00000000C67C: D1050006 20000D82
	v_mul_f32_e64 v7, -v131, s6                                // 00000000C684: D1050007 20000D83
	v_exp_f32_e32 v4, v4                                       // 00000000C68C: 7E084104
	v_exp_f32_e32 v5, v5                                       // 00000000C690: 7E0A4105
	v_exp_f32_e32 v6, v6                                       // 00000000C694: 7E0C4106
	v_exp_f32_e32 v7, v7                                       // 00000000C698: 7E0E4107
	v_add_f32_e64 v4, v4, 1.0                                  // 00000000C69C: D1010004 0001E504
	v_add_f32_e64 v5, v5, 1.0                                  // 00000000C6A4: D1010005 0001E505
	v_add_f32_e64 v6, v6, 1.0                                  // 00000000C6AC: D1010006 0001E506
	v_add_f32_e64 v7, v7, 1.0                                  // 00000000C6B4: D1010007 0001E507
	v_rcp_f32_e32 v4, v4                                       // 00000000C6BC: 7E084504
	v_rcp_f32_e32 v5, v5                                       // 00000000C6C0: 7E0A4505
	v_rcp_f32_e32 v6, v6                                       // 00000000C6C4: 7E0C4506
	v_rcp_f32_e32 v7, v7                                       // 00000000C6C8: 7E0E4507
	v_mul_f32_e32 v128, v128, v4                               // 00000000C6CC: 0B000980
	v_mul_f32_e32 v129, v129, v5                               // 00000000C6D0: 0B020B81
	v_mul_f32_e32 v130, v130, v6                               // 00000000C6D4: 0B040D82
	v_mul_f32_e32 v131, v131, v7                               // 00000000C6D8: 0B060F83
	v_mul_f32_e32 v128, v128, v200                             // 00000000C6DC: 0B019180
	v_mul_f32_e32 v129, v129, v201                             // 00000000C6E0: 0B039381
	v_mul_f32_e32 v130, v130, v202                             // 00000000C6E4: 0B059582
	v_mul_f32_e32 v131, v131, v203                             // 00000000C6E8: 0B079783
	v_mul_f32_e64 v4, -v132, s6                                // 00000000C6EC: D1050004 20000D84
	v_mul_f32_e64 v5, -v133, s6                                // 00000000C6F4: D1050005 20000D85
	v_mul_f32_e64 v6, -v134, s6                                // 00000000C6FC: D1050006 20000D86
	v_mul_f32_e64 v7, -v135, s6                                // 00000000C704: D1050007 20000D87
	v_exp_f32_e32 v4, v4                                       // 00000000C70C: 7E084104
	v_exp_f32_e32 v5, v5                                       // 00000000C710: 7E0A4105
	v_exp_f32_e32 v6, v6                                       // 00000000C714: 7E0C4106
	v_exp_f32_e32 v7, v7                                       // 00000000C718: 7E0E4107
	v_add_f32_e64 v4, v4, 1.0                                  // 00000000C71C: D1010004 0001E504
	v_add_f32_e64 v5, v5, 1.0                                  // 00000000C724: D1010005 0001E505
	v_add_f32_e64 v6, v6, 1.0                                  // 00000000C72C: D1010006 0001E506
	v_add_f32_e64 v7, v7, 1.0                                  // 00000000C734: D1010007 0001E507
	v_rcp_f32_e32 v4, v4                                       // 00000000C73C: 7E084504
	v_rcp_f32_e32 v5, v5                                       // 00000000C740: 7E0A4505
	v_rcp_f32_e32 v6, v6                                       // 00000000C744: 7E0C4506
	v_rcp_f32_e32 v7, v7                                       // 00000000C748: 7E0E4507
	v_mul_f32_e32 v132, v132, v4                               // 00000000C74C: 0B080984
	v_mul_f32_e32 v133, v133, v5                               // 00000000C750: 0B0A0B85
	v_mul_f32_e32 v134, v134, v6                               // 00000000C754: 0B0C0D86
	v_mul_f32_e32 v135, v135, v7                               // 00000000C758: 0B0E0F87
	v_mul_f32_e32 v132, v132, v204                             // 00000000C75C: 0B099984
	v_mul_f32_e32 v133, v133, v205                             // 00000000C760: 0B0B9B85
	v_mul_f32_e32 v134, v134, v206                             // 00000000C764: 0B0D9D86
	v_mul_f32_e32 v135, v135, v207                             // 00000000C768: 0B0F9F87
	v_mul_f32_e64 v4, -v136, s6                                // 00000000C76C: D1050004 20000D88
	v_mul_f32_e64 v5, -v137, s6                                // 00000000C774: D1050005 20000D89
	v_mul_f32_e64 v6, -v138, s6                                // 00000000C77C: D1050006 20000D8A
	v_mul_f32_e64 v7, -v139, s6                                // 00000000C784: D1050007 20000D8B
	v_exp_f32_e32 v4, v4                                       // 00000000C78C: 7E084104
	v_exp_f32_e32 v5, v5                                       // 00000000C790: 7E0A4105
	v_exp_f32_e32 v6, v6                                       // 00000000C794: 7E0C4106
	v_exp_f32_e32 v7, v7                                       // 00000000C798: 7E0E4107
	v_add_f32_e64 v4, v4, 1.0                                  // 00000000C79C: D1010004 0001E504
	v_add_f32_e64 v5, v5, 1.0                                  // 00000000C7A4: D1010005 0001E505
	v_add_f32_e64 v6, v6, 1.0                                  // 00000000C7AC: D1010006 0001E506
	v_add_f32_e64 v7, v7, 1.0                                  // 00000000C7B4: D1010007 0001E507
	v_rcp_f32_e32 v4, v4                                       // 00000000C7BC: 7E084504
	v_rcp_f32_e32 v5, v5                                       // 00000000C7C0: 7E0A4505
	v_rcp_f32_e32 v6, v6                                       // 00000000C7C4: 7E0C4506
	v_rcp_f32_e32 v7, v7                                       // 00000000C7C8: 7E0E4507
	v_mul_f32_e32 v136, v136, v4                               // 00000000C7CC: 0B100988
	v_mul_f32_e32 v137, v137, v5                               // 00000000C7D0: 0B120B89
	v_mul_f32_e32 v138, v138, v6                               // 00000000C7D4: 0B140D8A
	v_mul_f32_e32 v139, v139, v7                               // 00000000C7D8: 0B160F8B
	v_mul_f32_e32 v136, v136, v208                             // 00000000C7DC: 0B11A188
	v_mul_f32_e32 v137, v137, v209                             // 00000000C7E0: 0B13A389
	v_mul_f32_e32 v138, v138, v210                             // 00000000C7E4: 0B15A58A
	v_mul_f32_e32 v139, v139, v211                             // 00000000C7E8: 0B17A78B
	v_mul_f32_e64 v4, -v140, s6                                // 00000000C7EC: D1050004 20000D8C
	v_mul_f32_e64 v5, -v141, s6                                // 00000000C7F4: D1050005 20000D8D
	v_mul_f32_e64 v6, -v142, s6                                // 00000000C7FC: D1050006 20000D8E
	v_mul_f32_e64 v7, -v143, s6                                // 00000000C804: D1050007 20000D8F
	v_exp_f32_e32 v4, v4                                       // 00000000C80C: 7E084104
	v_exp_f32_e32 v5, v5                                       // 00000000C810: 7E0A4105
	v_exp_f32_e32 v6, v6                                       // 00000000C814: 7E0C4106
	v_exp_f32_e32 v7, v7                                       // 00000000C818: 7E0E4107
	v_add_f32_e64 v4, v4, 1.0                                  // 00000000C81C: D1010004 0001E504
	v_add_f32_e64 v5, v5, 1.0                                  // 00000000C824: D1010005 0001E505
	v_add_f32_e64 v6, v6, 1.0                                  // 00000000C82C: D1010006 0001E506
	v_add_f32_e64 v7, v7, 1.0                                  // 00000000C834: D1010007 0001E507
	v_rcp_f32_e32 v4, v4                                       // 00000000C83C: 7E084504
	v_rcp_f32_e32 v5, v5                                       // 00000000C840: 7E0A4505
	v_rcp_f32_e32 v6, v6                                       // 00000000C844: 7E0C4506
	v_rcp_f32_e32 v7, v7                                       // 00000000C848: 7E0E4507
	v_mul_f32_e32 v140, v140, v4                               // 00000000C84C: 0B18098C
	v_mul_f32_e32 v141, v141, v5                               // 00000000C850: 0B1A0B8D
	v_mul_f32_e32 v142, v142, v6                               // 00000000C854: 0B1C0D8E
	v_mul_f32_e32 v143, v143, v7                               // 00000000C858: 0B1E0F8F
	v_mul_f32_e32 v140, v140, v212                             // 00000000C85C: 0B19A98C
	v_mul_f32_e32 v141, v141, v213                             // 00000000C860: 0B1BAB8D
	v_mul_f32_e32 v142, v142, v214                             // 00000000C864: 0B1DAD8E
	v_mul_f32_e32 v143, v143, v215                             // 00000000C868: 0B1FAF8F
	v_mul_f32_e64 v4, -v144, s6                                // 00000000C86C: D1050004 20000D90
	v_mul_f32_e64 v5, -v145, s6                                // 00000000C874: D1050005 20000D91
	v_mul_f32_e64 v6, -v146, s6                                // 00000000C87C: D1050006 20000D92
	v_mul_f32_e64 v7, -v147, s6                                // 00000000C884: D1050007 20000D93
	v_exp_f32_e32 v4, v4                                       // 00000000C88C: 7E084104
	v_exp_f32_e32 v5, v5                                       // 00000000C890: 7E0A4105
	v_exp_f32_e32 v6, v6                                       // 00000000C894: 7E0C4106
	v_exp_f32_e32 v7, v7                                       // 00000000C898: 7E0E4107
	v_add_f32_e64 v4, v4, 1.0                                  // 00000000C89C: D1010004 0001E504
	v_add_f32_e64 v5, v5, 1.0                                  // 00000000C8A4: D1010005 0001E505
	v_add_f32_e64 v6, v6, 1.0                                  // 00000000C8AC: D1010006 0001E506
	v_add_f32_e64 v7, v7, 1.0                                  // 00000000C8B4: D1010007 0001E507
	v_rcp_f32_e32 v4, v4                                       // 00000000C8BC: 7E084504
	v_rcp_f32_e32 v5, v5                                       // 00000000C8C0: 7E0A4505
	v_rcp_f32_e32 v6, v6                                       // 00000000C8C4: 7E0C4506
	v_rcp_f32_e32 v7, v7                                       // 00000000C8C8: 7E0E4507
	v_mul_f32_e32 v144, v144, v4                               // 00000000C8CC: 0B200990
	v_mul_f32_e32 v145, v145, v5                               // 00000000C8D0: 0B220B91
	v_mul_f32_e32 v146, v146, v6                               // 00000000C8D4: 0B240D92
	v_mul_f32_e32 v147, v147, v7                               // 00000000C8D8: 0B260F93
	v_mul_f32_e32 v144, v144, v216                             // 00000000C8DC: 0B21B190
	v_mul_f32_e32 v145, v145, v217                             // 00000000C8E0: 0B23B391
	v_mul_f32_e32 v146, v146, v218                             // 00000000C8E4: 0B25B592
	v_mul_f32_e32 v147, v147, v219                             // 00000000C8E8: 0B27B793
	v_mul_f32_e64 v4, -v148, s6                                // 00000000C8EC: D1050004 20000D94
	v_mul_f32_e64 v5, -v149, s6                                // 00000000C8F4: D1050005 20000D95
	v_mul_f32_e64 v6, -v150, s6                                // 00000000C8FC: D1050006 20000D96
	v_mul_f32_e64 v7, -v151, s6                                // 00000000C904: D1050007 20000D97
	v_exp_f32_e32 v4, v4                                       // 00000000C90C: 7E084104
	v_exp_f32_e32 v5, v5                                       // 00000000C910: 7E0A4105
	v_exp_f32_e32 v6, v6                                       // 00000000C914: 7E0C4106
	v_exp_f32_e32 v7, v7                                       // 00000000C918: 7E0E4107
	v_add_f32_e64 v4, v4, 1.0                                  // 00000000C91C: D1010004 0001E504
	v_add_f32_e64 v5, v5, 1.0                                  // 00000000C924: D1010005 0001E505
	v_add_f32_e64 v6, v6, 1.0                                  // 00000000C92C: D1010006 0001E506
	v_add_f32_e64 v7, v7, 1.0                                  // 00000000C934: D1010007 0001E507
	v_rcp_f32_e32 v4, v4                                       // 00000000C93C: 7E084504
	v_rcp_f32_e32 v5, v5                                       // 00000000C940: 7E0A4505
	v_rcp_f32_e32 v6, v6                                       // 00000000C944: 7E0C4506
	v_rcp_f32_e32 v7, v7                                       // 00000000C948: 7E0E4507
	v_mul_f32_e32 v148, v148, v4                               // 00000000C94C: 0B280994
	v_mul_f32_e32 v149, v149, v5                               // 00000000C950: 0B2A0B95
	v_mul_f32_e32 v150, v150, v6                               // 00000000C954: 0B2C0D96
	v_mul_f32_e32 v151, v151, v7                               // 00000000C958: 0B2E0F97
	v_mul_f32_e32 v148, v148, v220                             // 00000000C95C: 0B29B994
	v_mul_f32_e32 v149, v149, v221                             // 00000000C960: 0B2BBB95
	v_mul_f32_e32 v150, v150, v222                             // 00000000C964: 0B2DBD96
	v_mul_f32_e32 v151, v151, v223                             // 00000000C968: 0B2FBF97
	v_mul_f32_e64 v4, -v152, s6                                // 00000000C96C: D1050004 20000D98
	v_mul_f32_e64 v5, -v153, s6                                // 00000000C974: D1050005 20000D99
	v_mul_f32_e64 v6, -v154, s6                                // 00000000C97C: D1050006 20000D9A
	v_mul_f32_e64 v7, -v155, s6                                // 00000000C984: D1050007 20000D9B
	v_exp_f32_e32 v4, v4                                       // 00000000C98C: 7E084104
	v_exp_f32_e32 v5, v5                                       // 00000000C990: 7E0A4105
	v_exp_f32_e32 v6, v6                                       // 00000000C994: 7E0C4106
	v_exp_f32_e32 v7, v7                                       // 00000000C998: 7E0E4107
	v_add_f32_e64 v4, v4, 1.0                                  // 00000000C99C: D1010004 0001E504
	v_add_f32_e64 v5, v5, 1.0                                  // 00000000C9A4: D1010005 0001E505
	v_add_f32_e64 v6, v6, 1.0                                  // 00000000C9AC: D1010006 0001E506
	v_add_f32_e64 v7, v7, 1.0                                  // 00000000C9B4: D1010007 0001E507
	v_rcp_f32_e32 v4, v4                                       // 00000000C9BC: 7E084504
	v_rcp_f32_e32 v5, v5                                       // 00000000C9C0: 7E0A4505
	v_rcp_f32_e32 v6, v6                                       // 00000000C9C4: 7E0C4506
	v_rcp_f32_e32 v7, v7                                       // 00000000C9C8: 7E0E4507
	v_mul_f32_e32 v152, v152, v4                               // 00000000C9CC: 0B300998
	v_mul_f32_e32 v153, v153, v5                               // 00000000C9D0: 0B320B99
	v_mul_f32_e32 v154, v154, v6                               // 00000000C9D4: 0B340D9A
	v_mul_f32_e32 v155, v155, v7                               // 00000000C9D8: 0B360F9B
	v_mul_f32_e32 v152, v152, v224                             // 00000000C9DC: 0B31C198
	v_mul_f32_e32 v153, v153, v225                             // 00000000C9E0: 0B33C399
	v_mul_f32_e32 v154, v154, v226                             // 00000000C9E4: 0B35C59A
	v_mul_f32_e32 v155, v155, v227                             // 00000000C9E8: 0B37C79B

000000000000c9ec <label_27FE>:
	v_cmp_u_f32_e64 s[46:47], v84, v84                         // 00000000C9EC: D048002E 0002A954
	v_add3_u32 v16, v84, v19, 1                                // 00000000C9F4: D1FF0010 02062754
	v_cndmask_b32_e64 v4, v16, v18, s[46:47]                   // 00000000C9FC: D1000004 00BA2510
	v_cmp_u_f32_e64 s[46:47], v85, v85                         // 00000000CA04: D048002E 0002AB55
	v_add3_u32 v16, v85, v19, 1                                // 00000000CA0C: D1FF0010 02062755
	v_cndmask_b32_e64 v5, v16, v18, s[46:47]                   // 00000000CA14: D1000005 00BA2510
	v_perm_b32 v84, v5, v4, s52                                // 00000000CA1C: D1ED0054 00D20905
	v_cmp_u_f32_e64 s[46:47], v86, v86                         // 00000000CA24: D048002E 0002AD56
	v_add3_u32 v16, v86, v19, 1                                // 00000000CA2C: D1FF0010 02062756
	v_cndmask_b32_e64 v4, v16, v18, s[46:47]                   // 00000000CA34: D1000004 00BA2510
	v_cmp_u_f32_e64 s[46:47], v87, v87                         // 00000000CA3C: D048002E 0002AF57
	v_add3_u32 v16, v87, v19, 1                                // 00000000CA44: D1FF0010 02062757
	v_cndmask_b32_e64 v5, v16, v18, s[46:47]                   // 00000000CA4C: D1000005 00BA2510
	v_perm_b32 v85, v5, v4, s52                                // 00000000CA54: D1ED0055 00D20905
	v_cmp_u_f32_e64 s[46:47], v88, v88                         // 00000000CA5C: D048002E 0002B158
	v_add3_u32 v16, v88, v19, 1                                // 00000000CA64: D1FF0010 02062758
	v_cndmask_b32_e64 v4, v16, v18, s[46:47]                   // 00000000CA6C: D1000004 00BA2510
	v_cmp_u_f32_e64 s[46:47], v89, v89                         // 00000000CA74: D048002E 0002B359
	v_add3_u32 v16, v89, v19, 1                                // 00000000CA7C: D1FF0010 02062759
	v_cndmask_b32_e64 v5, v16, v18, s[46:47]                   // 00000000CA84: D1000005 00BA2510
	v_perm_b32 v86, v5, v4, s52                                // 00000000CA8C: D1ED0056 00D20905
	v_cmp_u_f32_e64 s[46:47], v90, v90                         // 00000000CA94: D048002E 0002B55A
	v_add3_u32 v16, v90, v19, 1                                // 00000000CA9C: D1FF0010 0206275A
	v_cndmask_b32_e64 v4, v16, v18, s[46:47]                   // 00000000CAA4: D1000004 00BA2510
	v_cmp_u_f32_e64 s[46:47], v91, v91                         // 00000000CAAC: D048002E 0002B75B
	v_add3_u32 v16, v91, v19, 1                                // 00000000CAB4: D1FF0010 0206275B
	v_cndmask_b32_e64 v5, v16, v18, s[46:47]                   // 00000000CABC: D1000005 00BA2510
	v_perm_b32 v87, v5, v4, s52                                // 00000000CAC4: D1ED0057 00D20905
	v_cmp_u_f32_e64 s[46:47], v92, v92                         // 00000000CACC: D048002E 0002B95C
	v_add3_u32 v16, v92, v19, 1                                // 00000000CAD4: D1FF0010 0206275C
	v_cndmask_b32_e64 v4, v16, v18, s[46:47]                   // 00000000CADC: D1000004 00BA2510
	v_cmp_u_f32_e64 s[46:47], v93, v93                         // 00000000CAE4: D048002E 0002BB5D
	v_add3_u32 v16, v93, v19, 1                                // 00000000CAEC: D1FF0010 0206275D
	v_cndmask_b32_e64 v5, v16, v18, s[46:47]                   // 00000000CAF4: D1000005 00BA2510
	v_perm_b32 v88, v5, v4, s52                                // 00000000CAFC: D1ED0058 00D20905
	v_cmp_u_f32_e64 s[46:47], v94, v94                         // 00000000CB04: D048002E 0002BD5E
	v_add3_u32 v16, v94, v19, 1                                // 00000000CB0C: D1FF0010 0206275E
	v_cndmask_b32_e64 v4, v16, v18, s[46:47]                   // 00000000CB14: D1000004 00BA2510
	v_cmp_u_f32_e64 s[46:47], v95, v95                         // 00000000CB1C: D048002E 0002BF5F
	v_add3_u32 v16, v95, v19, 1                                // 00000000CB24: D1FF0010 0206275F
	v_cndmask_b32_e64 v5, v16, v18, s[46:47]                   // 00000000CB2C: D1000005 00BA2510
	v_perm_b32 v89, v5, v4, s52                                // 00000000CB34: D1ED0059 00D20905
	v_cmp_u_f32_e64 s[46:47], v96, v96                         // 00000000CB3C: D048002E 0002C160
	v_add3_u32 v16, v96, v19, 1                                // 00000000CB44: D1FF0010 02062760
	v_cndmask_b32_e64 v4, v16, v18, s[46:47]                   // 00000000CB4C: D1000004 00BA2510
	v_cmp_u_f32_e64 s[46:47], v97, v97                         // 00000000CB54: D048002E 0002C361
	v_add3_u32 v16, v97, v19, 1                                // 00000000CB5C: D1FF0010 02062761
	v_cndmask_b32_e64 v5, v16, v18, s[46:47]                   // 00000000CB64: D1000005 00BA2510
	v_perm_b32 v90, v5, v4, s52                                // 00000000CB6C: D1ED005A 00D20905
	v_cmp_u_f32_e64 s[46:47], v98, v98                         // 00000000CB74: D048002E 0002C562
	v_add3_u32 v16, v98, v19, 1                                // 00000000CB7C: D1FF0010 02062762
	v_cndmask_b32_e64 v4, v16, v18, s[46:47]                   // 00000000CB84: D1000004 00BA2510
	v_cmp_u_f32_e64 s[46:47], v99, v99                         // 00000000CB8C: D048002E 0002C763
	v_add3_u32 v16, v99, v19, 1                                // 00000000CB94: D1FF0010 02062763
	v_cndmask_b32_e64 v5, v16, v18, s[46:47]                   // 00000000CB9C: D1000005 00BA2510
	v_perm_b32 v91, v5, v4, s52                                // 00000000CBA4: D1ED005B 00D20905
	v_cmp_u_f32_e64 s[46:47], v100, v100                       // 00000000CBAC: D048002E 0002C964
	v_add3_u32 v16, v100, v19, 1                               // 00000000CBB4: D1FF0010 02062764
	v_cndmask_b32_e64 v4, v16, v18, s[46:47]                   // 00000000CBBC: D1000004 00BA2510
	v_cmp_u_f32_e64 s[46:47], v101, v101                       // 00000000CBC4: D048002E 0002CB65
	v_add3_u32 v16, v101, v19, 1                               // 00000000CBCC: D1FF0010 02062765
	v_cndmask_b32_e64 v5, v16, v18, s[46:47]                   // 00000000CBD4: D1000005 00BA2510
	v_perm_b32 v92, v5, v4, s52                                // 00000000CBDC: D1ED005C 00D20905
	v_cmp_u_f32_e64 s[46:47], v102, v102                       // 00000000CBE4: D048002E 0002CD66
	v_add3_u32 v16, v102, v19, 1                               // 00000000CBEC: D1FF0010 02062766
	v_cndmask_b32_e64 v4, v16, v18, s[46:47]                   // 00000000CBF4: D1000004 00BA2510
	v_cmp_u_f32_e64 s[46:47], v103, v103                       // 00000000CBFC: D048002E 0002CF67
	v_add3_u32 v16, v103, v19, 1                               // 00000000CC04: D1FF0010 02062767
	v_cndmask_b32_e64 v5, v16, v18, s[46:47]                   // 00000000CC0C: D1000005 00BA2510
	v_perm_b32 v93, v5, v4, s52                                // 00000000CC14: D1ED005D 00D20905
	v_cmp_u_f32_e64 s[46:47], v104, v104                       // 00000000CC1C: D048002E 0002D168
	v_add3_u32 v16, v104, v19, 1                               // 00000000CC24: D1FF0010 02062768
	v_cndmask_b32_e64 v4, v16, v18, s[46:47]                   // 00000000CC2C: D1000004 00BA2510
	v_cmp_u_f32_e64 s[46:47], v105, v105                       // 00000000CC34: D048002E 0002D369
	v_add3_u32 v16, v105, v19, 1                               // 00000000CC3C: D1FF0010 02062769
	v_cndmask_b32_e64 v5, v16, v18, s[46:47]                   // 00000000CC44: D1000005 00BA2510
	v_perm_b32 v94, v5, v4, s52                                // 00000000CC4C: D1ED005E 00D20905
	v_cmp_u_f32_e64 s[46:47], v106, v106                       // 00000000CC54: D048002E 0002D56A
	v_add3_u32 v16, v106, v19, 1                               // 00000000CC5C: D1FF0010 0206276A
	v_cndmask_b32_e64 v4, v16, v18, s[46:47]                   // 00000000CC64: D1000004 00BA2510
	v_cmp_u_f32_e64 s[46:47], v107, v107                       // 00000000CC6C: D048002E 0002D76B
	v_add3_u32 v16, v107, v19, 1                               // 00000000CC74: D1FF0010 0206276B
	v_cndmask_b32_e64 v5, v16, v18, s[46:47]                   // 00000000CC7C: D1000005 00BA2510
	v_perm_b32 v95, v5, v4, s52                                // 00000000CC84: D1ED005F 00D20905
	v_cmp_u_f32_e64 s[46:47], v108, v108                       // 00000000CC8C: D048002E 0002D96C
	v_add3_u32 v16, v108, v19, 1                               // 00000000CC94: D1FF0010 0206276C
	v_cndmask_b32_e64 v4, v16, v18, s[46:47]                   // 00000000CC9C: D1000004 00BA2510
	v_cmp_u_f32_e64 s[46:47], v109, v109                       // 00000000CCA4: D048002E 0002DB6D
	v_add3_u32 v16, v109, v19, 1                               // 00000000CCAC: D1FF0010 0206276D
	v_cndmask_b32_e64 v5, v16, v18, s[46:47]                   // 00000000CCB4: D1000005 00BA2510
	v_perm_b32 v96, v5, v4, s52                                // 00000000CCBC: D1ED0060 00D20905
	v_cmp_u_f32_e64 s[46:47], v110, v110                       // 00000000CCC4: D048002E 0002DD6E
	v_add3_u32 v16, v110, v19, 1                               // 00000000CCCC: D1FF0010 0206276E
	v_cndmask_b32_e64 v4, v16, v18, s[46:47]                   // 00000000CCD4: D1000004 00BA2510
	v_cmp_u_f32_e64 s[46:47], v111, v111                       // 00000000CCDC: D048002E 0002DF6F
	v_add3_u32 v16, v111, v19, 1                               // 00000000CCE4: D1FF0010 0206276F
	v_cndmask_b32_e64 v5, v16, v18, s[46:47]                   // 00000000CCEC: D1000005 00BA2510
	v_perm_b32 v97, v5, v4, s52                                // 00000000CCF4: D1ED0061 00D20905
	v_cmp_u_f32_e64 s[46:47], v112, v112                       // 00000000CCFC: D048002E 0002E170
	v_add3_u32 v16, v112, v19, 1                               // 00000000CD04: D1FF0010 02062770
	v_cndmask_b32_e64 v4, v16, v18, s[46:47]                   // 00000000CD0C: D1000004 00BA2510
	v_cmp_u_f32_e64 s[46:47], v113, v113                       // 00000000CD14: D048002E 0002E371
	v_add3_u32 v16, v113, v19, 1                               // 00000000CD1C: D1FF0010 02062771
	v_cndmask_b32_e64 v5, v16, v18, s[46:47]                   // 00000000CD24: D1000005 00BA2510
	v_perm_b32 v98, v5, v4, s52                                // 00000000CD2C: D1ED0062 00D20905
	v_cmp_u_f32_e64 s[46:47], v114, v114                       // 00000000CD34: D048002E 0002E572
	v_add3_u32 v16, v114, v19, 1                               // 00000000CD3C: D1FF0010 02062772
	v_cndmask_b32_e64 v4, v16, v18, s[46:47]                   // 00000000CD44: D1000004 00BA2510
	v_cmp_u_f32_e64 s[46:47], v115, v115                       // 00000000CD4C: D048002E 0002E773
	v_add3_u32 v16, v115, v19, 1                               // 00000000CD54: D1FF0010 02062773
	v_cndmask_b32_e64 v5, v16, v18, s[46:47]                   // 00000000CD5C: D1000005 00BA2510
	v_perm_b32 v99, v5, v4, s52                                // 00000000CD64: D1ED0063 00D20905
	v_cmp_u_f32_e64 s[46:47], v116, v116                       // 00000000CD6C: D048002E 0002E974
	v_add3_u32 v16, v116, v19, 1                               // 00000000CD74: D1FF0010 02062774
	v_cndmask_b32_e64 v4, v16, v18, s[46:47]                   // 00000000CD7C: D1000004 00BA2510
	v_cmp_u_f32_e64 s[46:47], v117, v117                       // 00000000CD84: D048002E 0002EB75
	v_add3_u32 v16, v117, v19, 1                               // 00000000CD8C: D1FF0010 02062775
	v_cndmask_b32_e64 v5, v16, v18, s[46:47]                   // 00000000CD94: D1000005 00BA2510
	v_perm_b32 v100, v5, v4, s52                               // 00000000CD9C: D1ED0064 00D20905
	v_cmp_u_f32_e64 s[46:47], v118, v118                       // 00000000CDA4: D048002E 0002ED76
	v_add3_u32 v16, v118, v19, 1                               // 00000000CDAC: D1FF0010 02062776
	v_cndmask_b32_e64 v4, v16, v18, s[46:47]                   // 00000000CDB4: D1000004 00BA2510
	v_cmp_u_f32_e64 s[46:47], v119, v119                       // 00000000CDBC: D048002E 0002EF77
	v_add3_u32 v16, v119, v19, 1                               // 00000000CDC4: D1FF0010 02062777
	v_cndmask_b32_e64 v5, v16, v18, s[46:47]                   // 00000000CDCC: D1000005 00BA2510
	v_perm_b32 v101, v5, v4, s52                               // 00000000CDD4: D1ED0065 00D20905
	v_cmp_u_f32_e64 s[46:47], v120, v120                       // 00000000CDDC: D048002E 0002F178
	v_add3_u32 v16, v120, v19, 1                               // 00000000CDE4: D1FF0010 02062778
	v_cndmask_b32_e64 v4, v16, v18, s[46:47]                   // 00000000CDEC: D1000004 00BA2510
	v_cmp_u_f32_e64 s[46:47], v121, v121                       // 00000000CDF4: D048002E 0002F379
	v_add3_u32 v16, v121, v19, 1                               // 00000000CDFC: D1FF0010 02062779
	v_cndmask_b32_e64 v5, v16, v18, s[46:47]                   // 00000000CE04: D1000005 00BA2510
	v_perm_b32 v102, v5, v4, s52                               // 00000000CE0C: D1ED0066 00D20905
	v_cmp_u_f32_e64 s[46:47], v122, v122                       // 00000000CE14: D048002E 0002F57A
	v_add3_u32 v16, v122, v19, 1                               // 00000000CE1C: D1FF0010 0206277A
	v_cndmask_b32_e64 v4, v16, v18, s[46:47]                   // 00000000CE24: D1000004 00BA2510
	v_cmp_u_f32_e64 s[46:47], v123, v123                       // 00000000CE2C: D048002E 0002F77B
	v_add3_u32 v16, v123, v19, 1                               // 00000000CE34: D1FF0010 0206277B
	v_cndmask_b32_e64 v5, v16, v18, s[46:47]                   // 00000000CE3C: D1000005 00BA2510
	v_perm_b32 v103, v5, v4, s52                               // 00000000CE44: D1ED0067 00D20905
	v_cmp_u_f32_e64 s[46:47], v124, v124                       // 00000000CE4C: D048002E 0002F97C
	v_add3_u32 v16, v124, v19, 1                               // 00000000CE54: D1FF0010 0206277C
	v_cndmask_b32_e64 v4, v16, v18, s[46:47]                   // 00000000CE5C: D1000004 00BA2510
	v_cmp_u_f32_e64 s[46:47], v125, v125                       // 00000000CE64: D048002E 0002FB7D
	v_add3_u32 v16, v125, v19, 1                               // 00000000CE6C: D1FF0010 0206277D
	v_cndmask_b32_e64 v5, v16, v18, s[46:47]                   // 00000000CE74: D1000005 00BA2510
	v_perm_b32 v104, v5, v4, s52                               // 00000000CE7C: D1ED0068 00D20905
	v_cmp_u_f32_e64 s[46:47], v126, v126                       // 00000000CE84: D048002E 0002FD7E
	v_add3_u32 v16, v126, v19, 1                               // 00000000CE8C: D1FF0010 0206277E
	v_cndmask_b32_e64 v4, v16, v18, s[46:47]                   // 00000000CE94: D1000004 00BA2510
	v_cmp_u_f32_e64 s[46:47], v127, v127                       // 00000000CE9C: D048002E 0002FF7F
	v_add3_u32 v16, v127, v19, 1                               // 00000000CEA4: D1FF0010 0206277F
	v_cndmask_b32_e64 v5, v16, v18, s[46:47]                   // 00000000CEAC: D1000005 00BA2510
	v_perm_b32 v105, v5, v4, s52                               // 00000000CEB4: D1ED0069 00D20905
	v_cmp_u_f32_e64 s[46:47], v128, v128                       // 00000000CEBC: D048002E 00030180
	v_add3_u32 v16, v128, v19, 1                               // 00000000CEC4: D1FF0010 02062780
	v_cndmask_b32_e64 v4, v16, v18, s[46:47]                   // 00000000CECC: D1000004 00BA2510
	v_cmp_u_f32_e64 s[46:47], v129, v129                       // 00000000CED4: D048002E 00030381
	v_add3_u32 v16, v129, v19, 1                               // 00000000CEDC: D1FF0010 02062781
	v_cndmask_b32_e64 v5, v16, v18, s[46:47]                   // 00000000CEE4: D1000005 00BA2510
	v_perm_b32 v106, v5, v4, s52                               // 00000000CEEC: D1ED006A 00D20905
	v_cmp_u_f32_e64 s[46:47], v130, v130                       // 00000000CEF4: D048002E 00030582
	v_add3_u32 v16, v130, v19, 1                               // 00000000CEFC: D1FF0010 02062782
	v_cndmask_b32_e64 v4, v16, v18, s[46:47]                   // 00000000CF04: D1000004 00BA2510
	v_cmp_u_f32_e64 s[46:47], v131, v131                       // 00000000CF0C: D048002E 00030783
	v_add3_u32 v16, v131, v19, 1                               // 00000000CF14: D1FF0010 02062783
	v_cndmask_b32_e64 v5, v16, v18, s[46:47]                   // 00000000CF1C: D1000005 00BA2510
	v_perm_b32 v107, v5, v4, s52                               // 00000000CF24: D1ED006B 00D20905
	v_cmp_u_f32_e64 s[46:47], v132, v132                       // 00000000CF2C: D048002E 00030984
	v_add3_u32 v16, v132, v19, 1                               // 00000000CF34: D1FF0010 02062784
	v_cndmask_b32_e64 v4, v16, v18, s[46:47]                   // 00000000CF3C: D1000004 00BA2510
	v_cmp_u_f32_e64 s[46:47], v133, v133                       // 00000000CF44: D048002E 00030B85
	v_add3_u32 v16, v133, v19, 1                               // 00000000CF4C: D1FF0010 02062785
	v_cndmask_b32_e64 v5, v16, v18, s[46:47]                   // 00000000CF54: D1000005 00BA2510
	v_perm_b32 v108, v5, v4, s52                               // 00000000CF5C: D1ED006C 00D20905
	v_cmp_u_f32_e64 s[46:47], v134, v134                       // 00000000CF64: D048002E 00030D86
	v_add3_u32 v16, v134, v19, 1                               // 00000000CF6C: D1FF0010 02062786
	v_cndmask_b32_e64 v4, v16, v18, s[46:47]                   // 00000000CF74: D1000004 00BA2510
	v_cmp_u_f32_e64 s[46:47], v135, v135                       // 00000000CF7C: D048002E 00030F87
	v_add3_u32 v16, v135, v19, 1                               // 00000000CF84: D1FF0010 02062787
	v_cndmask_b32_e64 v5, v16, v18, s[46:47]                   // 00000000CF8C: D1000005 00BA2510
	v_perm_b32 v109, v5, v4, s52                               // 00000000CF94: D1ED006D 00D20905
	v_cmp_u_f32_e64 s[46:47], v136, v136                       // 00000000CF9C: D048002E 00031188
	v_add3_u32 v16, v136, v19, 1                               // 00000000CFA4: D1FF0010 02062788
	v_cndmask_b32_e64 v4, v16, v18, s[46:47]                   // 00000000CFAC: D1000004 00BA2510
	v_cmp_u_f32_e64 s[46:47], v137, v137                       // 00000000CFB4: D048002E 00031389
	v_add3_u32 v16, v137, v19, 1                               // 00000000CFBC: D1FF0010 02062789
	v_cndmask_b32_e64 v5, v16, v18, s[46:47]                   // 00000000CFC4: D1000005 00BA2510
	v_perm_b32 v110, v5, v4, s52                               // 00000000CFCC: D1ED006E 00D20905
	v_cmp_u_f32_e64 s[46:47], v138, v138                       // 00000000CFD4: D048002E 0003158A
	v_add3_u32 v16, v138, v19, 1                               // 00000000CFDC: D1FF0010 0206278A
	v_cndmask_b32_e64 v4, v16, v18, s[46:47]                   // 00000000CFE4: D1000004 00BA2510
	v_cmp_u_f32_e64 s[46:47], v139, v139                       // 00000000CFEC: D048002E 0003178B
	v_add3_u32 v16, v139, v19, 1                               // 00000000CFF4: D1FF0010 0206278B
	v_cndmask_b32_e64 v5, v16, v18, s[46:47]                   // 00000000CFFC: D1000005 00BA2510
	v_perm_b32 v111, v5, v4, s52                               // 00000000D004: D1ED006F 00D20905
	v_cmp_u_f32_e64 s[46:47], v140, v140                       // 00000000D00C: D048002E 0003198C
	v_add3_u32 v16, v140, v19, 1                               // 00000000D014: D1FF0010 0206278C
	v_cndmask_b32_e64 v4, v16, v18, s[46:47]                   // 00000000D01C: D1000004 00BA2510
	v_cmp_u_f32_e64 s[46:47], v141, v141                       // 00000000D024: D048002E 00031B8D
	v_add3_u32 v16, v141, v19, 1                               // 00000000D02C: D1FF0010 0206278D
	v_cndmask_b32_e64 v5, v16, v18, s[46:47]                   // 00000000D034: D1000005 00BA2510
	v_perm_b32 v112, v5, v4, s52                               // 00000000D03C: D1ED0070 00D20905
	v_cmp_u_f32_e64 s[46:47], v142, v142                       // 00000000D044: D048002E 00031D8E
	v_add3_u32 v16, v142, v19, 1                               // 00000000D04C: D1FF0010 0206278E
	v_cndmask_b32_e64 v4, v16, v18, s[46:47]                   // 00000000D054: D1000004 00BA2510
	v_cmp_u_f32_e64 s[46:47], v143, v143                       // 00000000D05C: D048002E 00031F8F
	v_add3_u32 v16, v143, v19, 1                               // 00000000D064: D1FF0010 0206278F
	v_cndmask_b32_e64 v5, v16, v18, s[46:47]                   // 00000000D06C: D1000005 00BA2510
	v_perm_b32 v113, v5, v4, s52                               // 00000000D074: D1ED0071 00D20905
	v_cmp_u_f32_e64 s[46:47], v144, v144                       // 00000000D07C: D048002E 00032190
	v_add3_u32 v16, v144, v19, 1                               // 00000000D084: D1FF0010 02062790
	v_cndmask_b32_e64 v4, v16, v18, s[46:47]                   // 00000000D08C: D1000004 00BA2510
	v_cmp_u_f32_e64 s[46:47], v145, v145                       // 00000000D094: D048002E 00032391
	v_add3_u32 v16, v145, v19, 1                               // 00000000D09C: D1FF0010 02062791
	v_cndmask_b32_e64 v5, v16, v18, s[46:47]                   // 00000000D0A4: D1000005 00BA2510
	v_perm_b32 v114, v5, v4, s52                               // 00000000D0AC: D1ED0072 00D20905
	v_cmp_u_f32_e64 s[46:47], v146, v146                       // 00000000D0B4: D048002E 00032592
	v_add3_u32 v16, v146, v19, 1                               // 00000000D0BC: D1FF0010 02062792
	v_cndmask_b32_e64 v4, v16, v18, s[46:47]                   // 00000000D0C4: D1000004 00BA2510
	v_cmp_u_f32_e64 s[46:47], v147, v147                       // 00000000D0CC: D048002E 00032793
	v_add3_u32 v16, v147, v19, 1                               // 00000000D0D4: D1FF0010 02062793
	v_cndmask_b32_e64 v5, v16, v18, s[46:47]                   // 00000000D0DC: D1000005 00BA2510
	v_perm_b32 v115, v5, v4, s52                               // 00000000D0E4: D1ED0073 00D20905
	v_cmp_u_f32_e64 s[46:47], v148, v148                       // 00000000D0EC: D048002E 00032994
	v_add3_u32 v16, v148, v19, 1                               // 00000000D0F4: D1FF0010 02062794
	v_cndmask_b32_e64 v4, v16, v18, s[46:47]                   // 00000000D0FC: D1000004 00BA2510
	v_cmp_u_f32_e64 s[46:47], v149, v149                       // 00000000D104: D048002E 00032B95
	v_add3_u32 v16, v149, v19, 1                               // 00000000D10C: D1FF0010 02062795
	v_cndmask_b32_e64 v5, v16, v18, s[46:47]                   // 00000000D114: D1000005 00BA2510
	v_perm_b32 v116, v5, v4, s52                               // 00000000D11C: D1ED0074 00D20905
	v_cmp_u_f32_e64 s[46:47], v150, v150                       // 00000000D124: D048002E 00032D96
	v_add3_u32 v16, v150, v19, 1                               // 00000000D12C: D1FF0010 02062796
	v_cndmask_b32_e64 v4, v16, v18, s[46:47]                   // 00000000D134: D1000004 00BA2510
	v_cmp_u_f32_e64 s[46:47], v151, v151                       // 00000000D13C: D048002E 00032F97
	v_add3_u32 v16, v151, v19, 1                               // 00000000D144: D1FF0010 02062797
	v_cndmask_b32_e64 v5, v16, v18, s[46:47]                   // 00000000D14C: D1000005 00BA2510
	v_perm_b32 v117, v5, v4, s52                               // 00000000D154: D1ED0075 00D20905
	v_cmp_u_f32_e64 s[46:47], v152, v152                       // 00000000D15C: D048002E 00033198
	v_add3_u32 v16, v152, v19, 1                               // 00000000D164: D1FF0010 02062798
	v_cndmask_b32_e64 v4, v16, v18, s[46:47]                   // 00000000D16C: D1000004 00BA2510
	v_cmp_u_f32_e64 s[46:47], v153, v153                       // 00000000D174: D048002E 00033399
	v_add3_u32 v16, v153, v19, 1                               // 00000000D17C: D1FF0010 02062799
	v_cndmask_b32_e64 v5, v16, v18, s[46:47]                   // 00000000D184: D1000005 00BA2510
	v_perm_b32 v118, v5, v4, s52                               // 00000000D18C: D1ED0076 00D20905
	v_cmp_u_f32_e64 s[46:47], v154, v154                       // 00000000D194: D048002E 0003359A
	v_add3_u32 v16, v154, v19, 1                               // 00000000D19C: D1FF0010 0206279A
	v_cndmask_b32_e64 v4, v16, v18, s[46:47]                   // 00000000D1A4: D1000004 00BA2510
	v_cmp_u_f32_e64 s[46:47], v155, v155                       // 00000000D1AC: D048002E 0003379B
	v_add3_u32 v16, v155, v19, 1                               // 00000000D1B4: D1FF0010 0206279B
	v_cndmask_b32_e64 v5, v16, v18, s[46:47]                   // 00000000D1BC: D1000005 00BA2510
	v_perm_b32 v119, v5, v4, s52                               // 00000000D1C4: D1ED0077 00D20905
	ds_write_b64 v20, v[84:85]                                 // 00000000D1CC: D89A0000 00005414
	ds_write_b64 v20, v[86:87] offset:4352                     // 00000000D1D4: D89A1100 00005614
	ds_write_b64 v20, v[88:89] offset:8704                     // 00000000D1DC: D89A2200 00005814
	ds_write_b64 v20, v[90:91] offset:13056                    // 00000000D1E4: D89A3300 00005A14
	ds_write_b64 v20, v[92:93] offset:17408                    // 00000000D1EC: D89A4400 00005C14
	ds_write_b64 v20, v[94:95] offset:21760                    // 00000000D1F4: D89A5500 00005E14
	ds_write_b64 v20, v[96:97] offset:26112                    // 00000000D1FC: D89A6600 00006014
	ds_write_b64 v20, v[98:99] offset:30464                    // 00000000D204: D89A7700 00006214
	ds_write_b64 v20, v[100:101] offset:34816                  // 00000000D20C: D89A8800 00006414
	ds_write_b64 v20, v[102:103] offset:2176                   // 00000000D214: D89A0880 00006614
	ds_write_b64 v20, v[104:105] offset:6528                   // 00000000D21C: D89A1980 00006814
	ds_write_b64 v20, v[106:107] offset:10880                  // 00000000D224: D89A2A80 00006A14
	ds_write_b64 v20, v[108:109] offset:15232                  // 00000000D22C: D89A3B80 00006C14
	ds_write_b64 v20, v[110:111] offset:19584                  // 00000000D234: D89A4C80 00006E14
	ds_write_b64 v20, v[112:113] offset:23936                  // 00000000D23C: D89A5D80 00007014
	ds_write_b64 v20, v[114:115] offset:28288                  // 00000000D244: D89A6E80 00007214
	ds_write_b64 v20, v[116:117] offset:32640                  // 00000000D24C: D89A7F80 00007414
	ds_write_b64 v20, v[118:119] offset:36992                  // 00000000D254: D89A9080 00007614
	v_lshrrev_b32_e32 v4, 5, v0                                // 00000000D25C: 20080085
	v_xor_b32_e32 v5, 1, v4                                    // 00000000D260: 2A0A0881
	s_mul_i32 s60, s65, 2                                      // 00000000D264: 923C8241
	s_cmp_eq_u32 s88, 0                                        // 00000000D268: BF068058
	s_cselect_b32 s61, 1, 4                                    // 00000000D26C: 853D8481
	s_mul_i32 s60, s61, s60                                    // 00000000D270: 923C3C3D
	v_readlane_b32 s82, v3, 0                                  // 00000000D274: D2890052 00010103
	s_lshr_b32 s61, s82, 24                                    // 00000000D27C: 8F3D9852
	s_and_b32 s82, s82, 0xffffff                               // 00000000D280: 8652FF52 00FFFFFF
	s_mul_i32 s82, s82, s71                                    // 00000000D288: 92524752
	s_mul_i32 s61, s60, s61                                    // 00000000D28C: 923D3D3C
	s_add_u32 s82, s82, s61                                    // 00000000D290: 80523D52
	v_mul_lo_u32 v6, v5, s82                                   // 00000000D294: D2850006 0000A505
	v_readlane_b32 s82, v3, 1                                  // 00000000D29C: D2890052 00010303
	s_lshr_b32 s61, s82, 24                                    // 00000000D2A4: 8F3D9852
	s_and_b32 s82, s82, 0xffffff                               // 00000000D2A8: 8652FF52 00FFFFFF
	s_mul_i32 s82, s82, s71                                    // 00000000D2B0: 92524752
	s_mul_i32 s61, s60, s61                                    // 00000000D2B4: 923D3D3C
	s_add_u32 s82, s82, s61                                    // 00000000D2B8: 80523D52
	v_mul_lo_u32 v7, v4, s82                                   // 00000000D2BC: D2850007 0000A504
	v_add_u32_e32 v64, v6, v7                                  // 00000000D2C4: 68800F06
	v_readlane_b32 s82, v3, 2                                  // 00000000D2C8: D2890052 00010503
	s_lshr_b32 s61, s82, 24                                    // 00000000D2D0: 8F3D9852
	s_and_b32 s82, s82, 0xffffff                               // 00000000D2D4: 8652FF52 00FFFFFF
	s_mul_i32 s82, s82, s71                                    // 00000000D2DC: 92524752
	s_mul_i32 s61, s60, s61                                    // 00000000D2E0: 923D3D3C
	s_add_u32 s82, s82, s61                                    // 00000000D2E4: 80523D52
	v_mul_lo_u32 v6, v5, s82                                   // 00000000D2E8: D2850006 0000A505
	v_readlane_b32 s82, v3, 3                                  // 00000000D2F0: D2890052 00010703
	s_lshr_b32 s61, s82, 24                                    // 00000000D2F8: 8F3D9852
	s_and_b32 s82, s82, 0xffffff                               // 00000000D2FC: 8652FF52 00FFFFFF
	s_mul_i32 s82, s82, s71                                    // 00000000D304: 92524752
	s_mul_i32 s61, s60, s61                                    // 00000000D308: 923D3D3C
	s_add_u32 s82, s82, s61                                    // 00000000D30C: 80523D52
	v_mul_lo_u32 v7, v4, s82                                   // 00000000D310: D2850007 0000A504
	v_add_u32_e32 v65, v6, v7                                  // 00000000D318: 68820F06
	v_readlane_b32 s82, v3, 4                                  // 00000000D31C: D2890052 00010903
	s_lshr_b32 s61, s82, 24                                    // 00000000D324: 8F3D9852
	s_and_b32 s82, s82, 0xffffff                               // 00000000D328: 8652FF52 00FFFFFF
	s_mul_i32 s82, s82, s71                                    // 00000000D330: 92524752
	s_mul_i32 s61, s60, s61                                    // 00000000D334: 923D3D3C
	s_add_u32 s82, s82, s61                                    // 00000000D338: 80523D52
	v_mul_lo_u32 v6, v5, s82                                   // 00000000D33C: D2850006 0000A505
	v_readlane_b32 s82, v3, 5                                  // 00000000D344: D2890052 00010B03
	s_lshr_b32 s61, s82, 24                                    // 00000000D34C: 8F3D9852
	s_and_b32 s82, s82, 0xffffff                               // 00000000D350: 8652FF52 00FFFFFF
	s_mul_i32 s82, s82, s71                                    // 00000000D358: 92524752
	s_mul_i32 s61, s60, s61                                    // 00000000D35C: 923D3D3C
	s_add_u32 s82, s82, s61                                    // 00000000D360: 80523D52
	v_mul_lo_u32 v7, v4, s82                                   // 00000000D364: D2850007 0000A504
	v_add_u32_e32 v66, v6, v7                                  // 00000000D36C: 68840F06
	v_readlane_b32 s82, v3, 6                                  // 00000000D370: D2890052 00010D03
	s_lshr_b32 s61, s82, 24                                    // 00000000D378: 8F3D9852
	s_and_b32 s82, s82, 0xffffff                               // 00000000D37C: 8652FF52 00FFFFFF
	s_mul_i32 s82, s82, s71                                    // 00000000D384: 92524752
	s_mul_i32 s61, s60, s61                                    // 00000000D388: 923D3D3C
	s_add_u32 s82, s82, s61                                    // 00000000D38C: 80523D52
	v_mul_lo_u32 v6, v5, s82                                   // 00000000D390: D2850006 0000A505
	v_readlane_b32 s82, v3, 7                                  // 00000000D398: D2890052 00010F03
	s_lshr_b32 s61, s82, 24                                    // 00000000D3A0: 8F3D9852
	s_and_b32 s82, s82, 0xffffff                               // 00000000D3A4: 8652FF52 00FFFFFF
	s_mul_i32 s82, s82, s71                                    // 00000000D3AC: 92524752
	s_mul_i32 s61, s60, s61                                    // 00000000D3B0: 923D3D3C
	s_add_u32 s82, s82, s61                                    // 00000000D3B4: 80523D52
	v_mul_lo_u32 v7, v4, s82                                   // 00000000D3B8: D2850007 0000A504
	v_add_u32_e32 v67, v6, v7                                  // 00000000D3C0: 68860F06
	v_readlane_b32 s82, v3, 8                                  // 00000000D3C4: D2890052 00011103
	s_lshr_b32 s61, s82, 24                                    // 00000000D3CC: 8F3D9852
	s_and_b32 s82, s82, 0xffffff                               // 00000000D3D0: 8652FF52 00FFFFFF
	s_mul_i32 s82, s82, s71                                    // 00000000D3D8: 92524752
	s_mul_i32 s61, s60, s61                                    // 00000000D3DC: 923D3D3C
	s_add_u32 s82, s82, s61                                    // 00000000D3E0: 80523D52
	v_mul_lo_u32 v6, v5, s82                                   // 00000000D3E4: D2850006 0000A505
	v_readlane_b32 s82, v3, 9                                  // 00000000D3EC: D2890052 00011303
	s_lshr_b32 s61, s82, 24                                    // 00000000D3F4: 8F3D9852
	s_and_b32 s82, s82, 0xffffff                               // 00000000D3F8: 8652FF52 00FFFFFF
	s_mul_i32 s82, s82, s71                                    // 00000000D400: 92524752
	s_mul_i32 s61, s60, s61                                    // 00000000D404: 923D3D3C
	s_add_u32 s82, s82, s61                                    // 00000000D408: 80523D52
	v_mul_lo_u32 v7, v4, s82                                   // 00000000D40C: D2850007 0000A504
	v_add_u32_e32 v68, v6, v7                                  // 00000000D414: 68880F06
	v_readlane_b32 s82, v3, 10                                 // 00000000D418: D2890052 00011503
	s_lshr_b32 s61, s82, 24                                    // 00000000D420: 8F3D9852
	s_and_b32 s82, s82, 0xffffff                               // 00000000D424: 8652FF52 00FFFFFF
	s_mul_i32 s82, s82, s71                                    // 00000000D42C: 92524752
	s_mul_i32 s61, s60, s61                                    // 00000000D430: 923D3D3C
	s_add_u32 s82, s82, s61                                    // 00000000D434: 80523D52
	v_mul_lo_u32 v6, v5, s82                                   // 00000000D438: D2850006 0000A505
	v_readlane_b32 s82, v3, 11                                 // 00000000D440: D2890052 00011703
	s_lshr_b32 s61, s82, 24                                    // 00000000D448: 8F3D9852
	s_and_b32 s82, s82, 0xffffff                               // 00000000D44C: 8652FF52 00FFFFFF
	s_mul_i32 s82, s82, s71                                    // 00000000D454: 92524752
	s_mul_i32 s61, s60, s61                                    // 00000000D458: 923D3D3C
	s_add_u32 s82, s82, s61                                    // 00000000D45C: 80523D52
	v_mul_lo_u32 v7, v4, s82                                   // 00000000D460: D2850007 0000A504
	v_add_u32_e32 v69, v6, v7                                  // 00000000D468: 688A0F06
	v_readlane_b32 s82, v3, 12                                 // 00000000D46C: D2890052 00011903
	s_lshr_b32 s61, s82, 24                                    // 00000000D474: 8F3D9852
	s_and_b32 s82, s82, 0xffffff                               // 00000000D478: 8652FF52 00FFFFFF
	s_mul_i32 s82, s82, s71                                    // 00000000D480: 92524752
	s_mul_i32 s61, s60, s61                                    // 00000000D484: 923D3D3C
	s_add_u32 s82, s82, s61                                    // 00000000D488: 80523D52
	v_mul_lo_u32 v6, v5, s82                                   // 00000000D48C: D2850006 0000A505
	v_readlane_b32 s82, v3, 13                                 // 00000000D494: D2890052 00011B03
	s_lshr_b32 s61, s82, 24                                    // 00000000D49C: 8F3D9852
	s_and_b32 s82, s82, 0xffffff                               // 00000000D4A0: 8652FF52 00FFFFFF
	s_mul_i32 s82, s82, s71                                    // 00000000D4A8: 92524752
	s_mul_i32 s61, s60, s61                                    // 00000000D4AC: 923D3D3C
	s_add_u32 s82, s82, s61                                    // 00000000D4B0: 80523D52
	v_mul_lo_u32 v7, v4, s82                                   // 00000000D4B4: D2850007 0000A504
	v_add_u32_e32 v70, v6, v7                                  // 00000000D4BC: 688C0F06
	v_readlane_b32 s82, v3, 14                                 // 00000000D4C0: D2890052 00011D03
	s_lshr_b32 s61, s82, 24                                    // 00000000D4C8: 8F3D9852
	s_and_b32 s82, s82, 0xffffff                               // 00000000D4CC: 8652FF52 00FFFFFF
	s_mul_i32 s82, s82, s71                                    // 00000000D4D4: 92524752
	s_mul_i32 s61, s60, s61                                    // 00000000D4D8: 923D3D3C
	s_add_u32 s82, s82, s61                                    // 00000000D4DC: 80523D52
	v_mul_lo_u32 v6, v5, s82                                   // 00000000D4E0: D2850006 0000A505
	v_readlane_b32 s82, v3, 15                                 // 00000000D4E8: D2890052 00011F03
	s_lshr_b32 s61, s82, 24                                    // 00000000D4F0: 8F3D9852
	s_and_b32 s82, s82, 0xffffff                               // 00000000D4F4: 8652FF52 00FFFFFF
	s_mul_i32 s82, s82, s71                                    // 00000000D4FC: 92524752
	s_mul_i32 s61, s60, s61                                    // 00000000D500: 923D3D3C
	s_add_u32 s82, s82, s61                                    // 00000000D504: 80523D52
	v_mul_lo_u32 v7, v4, s82                                   // 00000000D508: D2850007 0000A504
	v_add_u32_e32 v71, v6, v7                                  // 00000000D510: 688E0F06
	v_readlane_b32 s82, v3, 16                                 // 00000000D514: D2890052 00012103
	s_lshr_b32 s61, s82, 24                                    // 00000000D51C: 8F3D9852
	s_and_b32 s82, s82, 0xffffff                               // 00000000D520: 8652FF52 00FFFFFF
	s_mul_i32 s82, s82, s71                                    // 00000000D528: 92524752
	s_mul_i32 s61, s60, s61                                    // 00000000D52C: 923D3D3C
	s_add_u32 s82, s82, s61                                    // 00000000D530: 80523D52
	v_mul_lo_u32 v6, v5, s82                                   // 00000000D534: D2850006 0000A505
	v_readlane_b32 s82, v3, 17                                 // 00000000D53C: D2890052 00012303
	s_lshr_b32 s61, s82, 24                                    // 00000000D544: 8F3D9852
	s_and_b32 s82, s82, 0xffffff                               // 00000000D548: 8652FF52 00FFFFFF
	s_mul_i32 s82, s82, s71                                    // 00000000D550: 92524752
	s_mul_i32 s61, s60, s61                                    // 00000000D554: 923D3D3C
	s_add_u32 s82, s82, s61                                    // 00000000D558: 80523D52
	v_mul_lo_u32 v7, v4, s82                                   // 00000000D55C: D2850007 0000A504
	v_add_u32_e32 v72, v6, v7                                  // 00000000D564: 68900F06
	v_readlane_b32 s82, v3, 18                                 // 00000000D568: D2890052 00012503
	s_lshr_b32 s61, s82, 24                                    // 00000000D570: 8F3D9852
	s_and_b32 s82, s82, 0xffffff                               // 00000000D574: 8652FF52 00FFFFFF
	s_mul_i32 s82, s82, s71                                    // 00000000D57C: 92524752
	s_mul_i32 s61, s60, s61                                    // 00000000D580: 923D3D3C
	s_add_u32 s82, s82, s61                                    // 00000000D584: 80523D52
	v_mul_lo_u32 v6, v5, s82                                   // 00000000D588: D2850006 0000A505
	v_readlane_b32 s82, v3, 19                                 // 00000000D590: D2890052 00012703
	s_lshr_b32 s61, s82, 24                                    // 00000000D598: 8F3D9852
	s_and_b32 s82, s82, 0xffffff                               // 00000000D59C: 8652FF52 00FFFFFF
	s_mul_i32 s82, s82, s71                                    // 00000000D5A4: 92524752
	s_mul_i32 s61, s60, s61                                    // 00000000D5A8: 923D3D3C
	s_add_u32 s82, s82, s61                                    // 00000000D5AC: 80523D52
	v_mul_lo_u32 v7, v4, s82                                   // 00000000D5B0: D2850007 0000A504
	v_add_u32_e32 v73, v6, v7                                  // 00000000D5B8: 68920F06
	v_readlane_b32 s82, v3, 20                                 // 00000000D5BC: D2890052 00012903
	s_lshr_b32 s61, s82, 24                                    // 00000000D5C4: 8F3D9852
	s_and_b32 s82, s82, 0xffffff                               // 00000000D5C8: 8652FF52 00FFFFFF
	s_mul_i32 s82, s82, s71                                    // 00000000D5D0: 92524752
	s_mul_i32 s61, s60, s61                                    // 00000000D5D4: 923D3D3C
	s_add_u32 s82, s82, s61                                    // 00000000D5D8: 80523D52
	v_mul_lo_u32 v6, v5, s82                                   // 00000000D5DC: D2850006 0000A505
	v_readlane_b32 s82, v3, 21                                 // 00000000D5E4: D2890052 00012B03
	s_lshr_b32 s61, s82, 24                                    // 00000000D5EC: 8F3D9852
	s_and_b32 s82, s82, 0xffffff                               // 00000000D5F0: 8652FF52 00FFFFFF
	s_mul_i32 s82, s82, s71                                    // 00000000D5F8: 92524752
	s_mul_i32 s61, s60, s61                                    // 00000000D5FC: 923D3D3C
	s_add_u32 s82, s82, s61                                    // 00000000D600: 80523D52
	v_mul_lo_u32 v7, v4, s82                                   // 00000000D604: D2850007 0000A504
	v_add_u32_e32 v74, v6, v7                                  // 00000000D60C: 68940F06
	v_readlane_b32 s82, v3, 22                                 // 00000000D610: D2890052 00012D03
	s_lshr_b32 s61, s82, 24                                    // 00000000D618: 8F3D9852
	s_and_b32 s82, s82, 0xffffff                               // 00000000D61C: 8652FF52 00FFFFFF
	s_mul_i32 s82, s82, s71                                    // 00000000D624: 92524752
	s_mul_i32 s61, s60, s61                                    // 00000000D628: 923D3D3C
	s_add_u32 s82, s82, s61                                    // 00000000D62C: 80523D52
	v_mul_lo_u32 v6, v5, s82                                   // 00000000D630: D2850006 0000A505
	v_readlane_b32 s82, v3, 23                                 // 00000000D638: D2890052 00012F03
	s_lshr_b32 s61, s82, 24                                    // 00000000D640: 8F3D9852
	s_and_b32 s82, s82, 0xffffff                               // 00000000D644: 8652FF52 00FFFFFF
	s_mul_i32 s82, s82, s71                                    // 00000000D64C: 92524752
	s_mul_i32 s61, s60, s61                                    // 00000000D650: 923D3D3C
	s_add_u32 s82, s82, s61                                    // 00000000D654: 80523D52
	v_mul_lo_u32 v7, v4, s82                                   // 00000000D658: D2850007 0000A504
	v_add_u32_e32 v75, v6, v7                                  // 00000000D660: 68960F06
	v_readlane_b32 s82, v3, 24                                 // 00000000D664: D2890052 00013103
	s_lshr_b32 s61, s82, 24                                    // 00000000D66C: 8F3D9852
	s_and_b32 s82, s82, 0xffffff                               // 00000000D670: 8652FF52 00FFFFFF
	s_mul_i32 s82, s82, s71                                    // 00000000D678: 92524752
	s_mul_i32 s61, s60, s61                                    // 00000000D67C: 923D3D3C
	s_add_u32 s82, s82, s61                                    // 00000000D680: 80523D52
	v_mul_lo_u32 v6, v5, s82                                   // 00000000D684: D2850006 0000A505
	v_readlane_b32 s82, v3, 25                                 // 00000000D68C: D2890052 00013303
	s_lshr_b32 s61, s82, 24                                    // 00000000D694: 8F3D9852
	s_and_b32 s82, s82, 0xffffff                               // 00000000D698: 8652FF52 00FFFFFF
	s_mul_i32 s82, s82, s71                                    // 00000000D6A0: 92524752
	s_mul_i32 s61, s60, s61                                    // 00000000D6A4: 923D3D3C
	s_add_u32 s82, s82, s61                                    // 00000000D6A8: 80523D52
	v_mul_lo_u32 v7, v4, s82                                   // 00000000D6AC: D2850007 0000A504
	v_add_u32_e32 v76, v6, v7                                  // 00000000D6B4: 68980F06
	v_readlane_b32 s82, v3, 26                                 // 00000000D6B8: D2890052 00013503
	s_lshr_b32 s61, s82, 24                                    // 00000000D6C0: 8F3D9852
	s_and_b32 s82, s82, 0xffffff                               // 00000000D6C4: 8652FF52 00FFFFFF
	s_mul_i32 s82, s82, s71                                    // 00000000D6CC: 92524752
	s_mul_i32 s61, s60, s61                                    // 00000000D6D0: 923D3D3C
	s_add_u32 s82, s82, s61                                    // 00000000D6D4: 80523D52
	v_mul_lo_u32 v6, v5, s82                                   // 00000000D6D8: D2850006 0000A505
	v_readlane_b32 s82, v3, 27                                 // 00000000D6E0: D2890052 00013703
	s_lshr_b32 s61, s82, 24                                    // 00000000D6E8: 8F3D9852
	s_and_b32 s82, s82, 0xffffff                               // 00000000D6EC: 8652FF52 00FFFFFF
	s_mul_i32 s82, s82, s71                                    // 00000000D6F4: 92524752
	s_mul_i32 s61, s60, s61                                    // 00000000D6F8: 923D3D3C
	s_add_u32 s82, s82, s61                                    // 00000000D6FC: 80523D52
	v_mul_lo_u32 v7, v4, s82                                   // 00000000D700: D2850007 0000A504
	v_add_u32_e32 v77, v6, v7                                  // 00000000D708: 689A0F06
	v_readlane_b32 s82, v3, 28                                 // 00000000D70C: D2890052 00013903
	s_lshr_b32 s61, s82, 24                                    // 00000000D714: 8F3D9852
	s_and_b32 s82, s82, 0xffffff                               // 00000000D718: 8652FF52 00FFFFFF
	s_mul_i32 s82, s82, s71                                    // 00000000D720: 92524752
	s_mul_i32 s61, s60, s61                                    // 00000000D724: 923D3D3C
	s_add_u32 s82, s82, s61                                    // 00000000D728: 80523D52
	v_mul_lo_u32 v6, v5, s82                                   // 00000000D72C: D2850006 0000A505
	v_readlane_b32 s82, v3, 29                                 // 00000000D734: D2890052 00013B03
	s_lshr_b32 s61, s82, 24                                    // 00000000D73C: 8F3D9852
	s_and_b32 s82, s82, 0xffffff                               // 00000000D740: 8652FF52 00FFFFFF
	s_mul_i32 s82, s82, s71                                    // 00000000D748: 92524752
	s_mul_i32 s61, s60, s61                                    // 00000000D74C: 923D3D3C
	s_add_u32 s82, s82, s61                                    // 00000000D750: 80523D52
	v_mul_lo_u32 v7, v4, s82                                   // 00000000D754: D2850007 0000A504
	v_add_u32_e32 v78, v6, v7                                  // 00000000D75C: 689C0F06
	v_readlane_b32 s82, v3, 30                                 // 00000000D760: D2890052 00013D03
	s_lshr_b32 s61, s82, 24                                    // 00000000D768: 8F3D9852
	s_and_b32 s82, s82, 0xffffff                               // 00000000D76C: 8652FF52 00FFFFFF
	s_mul_i32 s82, s82, s71                                    // 00000000D774: 92524752
	s_mul_i32 s61, s60, s61                                    // 00000000D778: 923D3D3C
	s_add_u32 s82, s82, s61                                    // 00000000D77C: 80523D52
	v_mul_lo_u32 v6, v5, s82                                   // 00000000D780: D2850006 0000A505
	v_readlane_b32 s82, v3, 31                                 // 00000000D788: D2890052 00013F03
	s_lshr_b32 s61, s82, 24                                    // 00000000D790: 8F3D9852
	s_and_b32 s82, s82, 0xffffff                               // 00000000D794: 8652FF52 00FFFFFF
	s_mul_i32 s82, s82, s71                                    // 00000000D79C: 92524752
	s_mul_i32 s61, s60, s61                                    // 00000000D7A0: 923D3D3C
	s_add_u32 s82, s82, s61                                    // 00000000D7A4: 80523D52
	v_mul_lo_u32 v7, v4, s82                                   // 00000000D7A8: D2850007 0000A504
	v_add_u32_e32 v79, v6, v7                                  // 00000000D7B0: 689E0F06
	v_readlane_b32 s82, v3, 32                                 // 00000000D7B4: D2890052 00014103
	s_lshr_b32 s61, s82, 24                                    // 00000000D7BC: 8F3D9852
	s_and_b32 s82, s82, 0xffffff                               // 00000000D7C0: 8652FF52 00FFFFFF
	s_mul_i32 s82, s82, s71                                    // 00000000D7C8: 92524752
	s_mul_i32 s61, s60, s61                                    // 00000000D7CC: 923D3D3C
	s_add_u32 s82, s82, s61                                    // 00000000D7D0: 80523D52
	v_mul_lo_u32 v6, v5, s82                                   // 00000000D7D4: D2850006 0000A505
	v_readlane_b32 s82, v3, 33                                 // 00000000D7DC: D2890052 00014303
	s_lshr_b32 s61, s82, 24                                    // 00000000D7E4: 8F3D9852
	s_and_b32 s82, s82, 0xffffff                               // 00000000D7E8: 8652FF52 00FFFFFF
	s_mul_i32 s82, s82, s71                                    // 00000000D7F0: 92524752
	s_mul_i32 s61, s60, s61                                    // 00000000D7F4: 923D3D3C
	s_add_u32 s82, s82, s61                                    // 00000000D7F8: 80523D52
	v_mul_lo_u32 v7, v4, s82                                   // 00000000D7FC: D2850007 0000A504
	v_add_u32_e32 v80, v6, v7                                  // 00000000D804: 68A00F06
	v_readlane_b32 s82, v3, 34                                 // 00000000D808: D2890052 00014503
	s_lshr_b32 s61, s82, 24                                    // 00000000D810: 8F3D9852
	s_and_b32 s82, s82, 0xffffff                               // 00000000D814: 8652FF52 00FFFFFF
	s_mul_i32 s82, s82, s71                                    // 00000000D81C: 92524752
	s_mul_i32 s61, s60, s61                                    // 00000000D820: 923D3D3C
	s_add_u32 s82, s82, s61                                    // 00000000D824: 80523D52
	v_mul_lo_u32 v6, v5, s82                                   // 00000000D828: D2850006 0000A505
	v_readlane_b32 s82, v3, 35                                 // 00000000D830: D2890052 00014703
	s_lshr_b32 s61, s82, 24                                    // 00000000D838: 8F3D9852
	s_and_b32 s82, s82, 0xffffff                               // 00000000D83C: 8652FF52 00FFFFFF
	s_mul_i32 s82, s82, s71                                    // 00000000D844: 92524752
	s_mul_i32 s61, s60, s61                                    // 00000000D848: 923D3D3C
	s_add_u32 s82, s82, s61                                    // 00000000D84C: 80523D52
	v_mul_lo_u32 v7, v4, s82                                   // 00000000D850: D2850007 0000A504
	v_add_u32_e32 v81, v6, v7                                  // 00000000D858: 68A20F06
	v_and_b32_e32 v4, 31, v0                                   // 00000000D85C: 2608009F
	v_lshrrev_b32_e32 v4, 1, v4                                // 00000000D860: 20080881
	s_cmp_eq_u32 s88, 0                                        // 00000000D864: BF068058
	s_cselect_b32 s61, 2, 4                                    // 00000000D868: 853D8482
	v_mul_lo_u32 v4, v4, s61                                   // 00000000D86C: D2850004 00007B04
	v_and_b32_e64 v5, v0, 1                                    // 00000000D874: D1130005 00010300
	v_add_u32_e32 v4, v4, v5                                   // 00000000D87C: 68080B04
	v_lshlrev_b32_e32 v4, 2, v4                                // 00000000D880: 24080882
	v_add_u32_e32 v64, v64, v4                                 // 00000000D884: 68800940
	v_add_u32_e32 v65, v65, v4                                 // 00000000D888: 68820941
	v_add_u32_e32 v66, v66, v4                                 // 00000000D88C: 68840942
	v_add_u32_e32 v67, v67, v4                                 // 00000000D890: 68860943
	v_add_u32_e32 v68, v68, v4                                 // 00000000D894: 68880944
	v_add_u32_e32 v69, v69, v4                                 // 00000000D898: 688A0945
	v_add_u32_e32 v70, v70, v4                                 // 00000000D89C: 688C0946
	v_add_u32_e32 v71, v71, v4                                 // 00000000D8A0: 688E0947
	v_add_u32_e32 v72, v72, v4                                 // 00000000D8A4: 68900948
	v_add_u32_e32 v73, v73, v4                                 // 00000000D8A8: 68920949
	v_add_u32_e32 v74, v74, v4                                 // 00000000D8AC: 6894094A
	v_add_u32_e32 v75, v75, v4                                 // 00000000D8B0: 6896094B
	v_add_u32_e32 v76, v76, v4                                 // 00000000D8B4: 6898094C
	v_add_u32_e32 v77, v77, v4                                 // 00000000D8B8: 689A094D
	v_add_u32_e32 v78, v78, v4                                 // 00000000D8BC: 689C094E
	v_add_u32_e32 v79, v79, v4                                 // 00000000D8C0: 689E094F
	v_add_u32_e32 v80, v80, v4                                 // 00000000D8C4: 68A00950
	v_add_u32_e32 v81, v81, v4                                 // 00000000D8C8: 68A20951
	s_waitcnt lgkmcnt(0)                                       // 00000000D8CC: BF8CC07F
	s_barrier                                                  // 00000000D8D0: BF8A0000
	ds_read_b32 v84, v21                                       // 00000000D8D4: D86C0000 54000015
	ds_read_b32 v85, v21 offset:64                             // 00000000D8DC: D86C0040 55000015
	ds_read_b32 v86, v21 offset:2176                           // 00000000D8E4: D86C0880 56000015
	ds_read_b32 v87, v21 offset:2240                           // 00000000D8EC: D86C08C0 57000015
	ds_read_b32 v88, v21 offset:4352                           // 00000000D8F4: D86C1100 58000015
	ds_read_b32 v89, v21 offset:4416                           // 00000000D8FC: D86C1140 59000015
	ds_read_b32 v90, v21 offset:6528                           // 00000000D904: D86C1980 5A000015
	ds_read_b32 v91, v21 offset:6592                           // 00000000D90C: D86C19C0 5B000015
	ds_read_b32 v92, v21 offset:8704                           // 00000000D914: D86C2200 5C000015
	ds_read_b32 v93, v21 offset:8768                           // 00000000D91C: D86C2240 5D000015
	ds_read_b32 v94, v21 offset:10880                          // 00000000D924: D86C2A80 5E000015
	ds_read_b32 v95, v21 offset:10944                          // 00000000D92C: D86C2AC0 5F000015
	ds_read_b32 v96, v21 offset:13056                          // 00000000D934: D86C3300 60000015
	ds_read_b32 v97, v21 offset:13120                          // 00000000D93C: D86C3340 61000015
	ds_read_b32 v98, v21 offset:15232                          // 00000000D944: D86C3B80 62000015
	ds_read_b32 v99, v21 offset:15296                          // 00000000D94C: D86C3BC0 63000015
	ds_read_b32 v100, v21 offset:17408                         // 00000000D954: D86C4400 64000015
	ds_read_b32 v101, v21 offset:17472                         // 00000000D95C: D86C4440 65000015
	ds_read_b32 v102, v21 offset:19584                         // 00000000D964: D86C4C80 66000015
	ds_read_b32 v103, v21 offset:19648                         // 00000000D96C: D86C4CC0 67000015
	ds_read_b32 v104, v21 offset:21760                         // 00000000D974: D86C5500 68000015
	ds_read_b32 v105, v21 offset:21824                         // 00000000D97C: D86C5540 69000015
	ds_read_b32 v106, v21 offset:23936                         // 00000000D984: D86C5D80 6A000015
	ds_read_b32 v107, v21 offset:24000                         // 00000000D98C: D86C5DC0 6B000015
	ds_read_b32 v108, v21 offset:26112                         // 00000000D994: D86C6600 6C000015
	ds_read_b32 v109, v21 offset:26176                         // 00000000D99C: D86C6640 6D000015
	ds_read_b32 v110, v21 offset:28288                         // 00000000D9A4: D86C6E80 6E000015
	ds_read_b32 v111, v21 offset:28352                         // 00000000D9AC: D86C6EC0 6F000015
	ds_read_b32 v112, v21 offset:30464                         // 00000000D9B4: D86C7700 70000015
	ds_read_b32 v113, v21 offset:30528                         // 00000000D9BC: D86C7740 71000015
	ds_read_b32 v114, v21 offset:32640                         // 00000000D9C4: D86C7F80 72000015
	ds_read_b32 v115, v21 offset:32704                         // 00000000D9CC: D86C7FC0 73000015
	ds_read_b32 v116, v21 offset:34816                         // 00000000D9D4: D86C8800 74000015
	ds_read_b32 v117, v21 offset:34880                         // 00000000D9DC: D86C8840 75000015
	ds_read_b32 v118, v21 offset:36992                         // 00000000D9E4: D86C9080 76000015
	ds_read_b32 v119, v21 offset:37056                         // 00000000D9EC: D86C90C0 77000015
	s_waitcnt lgkmcnt(0)                                       // 00000000D9F4: BF8CC07F
	s_mov_b32 s36, -1                                          // 00000000D9F8: BEA400C1
	s_mov_b32 s37, -1                                          // 00000000D9FC: BEA500C1
	v_mov_b32_e32 v7, 0                                        // 00000000DA00: 7E0E0280
	s_or_b32 s9, s9, 0x40000                                   // 00000000DA04: 8709FF09 00040000
	s_mov_b64 exec, s[36:37]                                   // 00000000DA0C: BEFE0124
	v_mov_b32_e32 v6, v64                                      // 00000000DA10: 7E0C0340
	s_mov_b64 s[60:61], 0                                      // 00000000DA14: BEBC0180
	v_readlane_b32 s82, v3, 0                                  // 00000000DA18: D2890052 00010103
	s_and_b32 s82, s82, 0xffffff                               // 00000000DA20: 8652FF52 00FFFFFF
	s_cmp_lt_u32 s82, s66                                      // 00000000DA28: BF0A4252
	s_cselect_b32 s20, s36, s60                                // 00000000DA2C: 85143C24
	v_readlane_b32 s82, v3, 1                                  // 00000000DA30: D2890052 00010303
	s_and_b32 s82, s82, 0xffffff                               // 00000000DA38: 8652FF52 00FFFFFF
	s_cmp_lt_u32 s82, s66                                      // 00000000DA40: BF0A4252
	s_cselect_b32 s21, s36, s60                                // 00000000DA44: 85153C24
	s_mov_b64 exec, s[20:21]                                   // 00000000DA48: BEFE0114
	buffer_store_dword v84, v6, s[8:11], 0 offen               // 00000000DA4C: E0701000 80025406
	buffer_store_dword v86, v6, s[8:11], 0 offen offset:128    // 00000000DA54: E0701080 80025606
	s_mov_b64 exec, s[36:37]                                   // 00000000DA5C: BEFE0124
	v_mov_b32_e32 v6, v65                                      // 00000000DA60: 7E0C0341
	s_mov_b64 s[60:61], 0                                      // 00000000DA64: BEBC0180
	v_readlane_b32 s82, v3, 2                                  // 00000000DA68: D2890052 00010503
	s_and_b32 s82, s82, 0xffffff                               // 00000000DA70: 8652FF52 00FFFFFF
	s_cmp_lt_u32 s82, s66                                      // 00000000DA78: BF0A4252
	s_cselect_b32 s20, s36, s60                                // 00000000DA7C: 85143C24
	v_readlane_b32 s82, v3, 3                                  // 00000000DA80: D2890052 00010703
	s_and_b32 s82, s82, 0xffffff                               // 00000000DA88: 8652FF52 00FFFFFF
	s_cmp_lt_u32 s82, s66                                      // 00000000DA90: BF0A4252
	s_cselect_b32 s21, s36, s60                                // 00000000DA94: 85153C24
	s_mov_b64 exec, s[20:21]                                   // 00000000DA98: BEFE0114
	buffer_store_dword v85, v6, s[8:11], 0 offen               // 00000000DA9C: E0701000 80025506
	buffer_store_dword v87, v6, s[8:11], 0 offen offset:128    // 00000000DAA4: E0701080 80025706
	s_mov_b64 exec, s[36:37]                                   // 00000000DAAC: BEFE0124
	v_mov_b32_e32 v6, v66                                      // 00000000DAB0: 7E0C0342
	s_mov_b64 s[60:61], 0                                      // 00000000DAB4: BEBC0180
	v_readlane_b32 s82, v3, 4                                  // 00000000DAB8: D2890052 00010903
	s_and_b32 s82, s82, 0xffffff                               // 00000000DAC0: 8652FF52 00FFFFFF
	s_cmp_lt_u32 s82, s66                                      // 00000000DAC8: BF0A4252
	s_cselect_b32 s20, s36, s60                                // 00000000DACC: 85143C24
	v_readlane_b32 s82, v3, 5                                  // 00000000DAD0: D2890052 00010B03
	s_and_b32 s82, s82, 0xffffff                               // 00000000DAD8: 8652FF52 00FFFFFF
	s_cmp_lt_u32 s82, s66                                      // 00000000DAE0: BF0A4252
	s_cselect_b32 s21, s36, s60                                // 00000000DAE4: 85153C24
	s_mov_b64 exec, s[20:21]                                   // 00000000DAE8: BEFE0114
	buffer_store_dword v88, v6, s[8:11], 0 offen               // 00000000DAEC: E0701000 80025806
	buffer_store_dword v90, v6, s[8:11], 0 offen offset:128    // 00000000DAF4: E0701080 80025A06
	s_mov_b64 exec, s[36:37]                                   // 00000000DAFC: BEFE0124
	v_mov_b32_e32 v6, v67                                      // 00000000DB00: 7E0C0343
	s_mov_b64 s[60:61], 0                                      // 00000000DB04: BEBC0180
	v_readlane_b32 s82, v3, 6                                  // 00000000DB08: D2890052 00010D03
	s_and_b32 s82, s82, 0xffffff                               // 00000000DB10: 8652FF52 00FFFFFF
	s_cmp_lt_u32 s82, s66                                      // 00000000DB18: BF0A4252
	s_cselect_b32 s20, s36, s60                                // 00000000DB1C: 85143C24
	v_readlane_b32 s82, v3, 7                                  // 00000000DB20: D2890052 00010F03
	s_and_b32 s82, s82, 0xffffff                               // 00000000DB28: 8652FF52 00FFFFFF
	s_cmp_lt_u32 s82, s66                                      // 00000000DB30: BF0A4252
	s_cselect_b32 s21, s36, s60                                // 00000000DB34: 85153C24
	s_mov_b64 exec, s[20:21]                                   // 00000000DB38: BEFE0114
	buffer_store_dword v89, v6, s[8:11], 0 offen               // 00000000DB3C: E0701000 80025906
	buffer_store_dword v91, v6, s[8:11], 0 offen offset:128    // 00000000DB44: E0701080 80025B06
	s_mov_b64 exec, s[36:37]                                   // 00000000DB4C: BEFE0124
	v_mov_b32_e32 v6, v68                                      // 00000000DB50: 7E0C0344
	s_mov_b64 s[60:61], 0                                      // 00000000DB54: BEBC0180
	v_readlane_b32 s82, v3, 8                                  // 00000000DB58: D2890052 00011103
	s_and_b32 s82, s82, 0xffffff                               // 00000000DB60: 8652FF52 00FFFFFF
	s_cmp_lt_u32 s82, s66                                      // 00000000DB68: BF0A4252
	s_cselect_b32 s20, s36, s60                                // 00000000DB6C: 85143C24
	v_readlane_b32 s82, v3, 9                                  // 00000000DB70: D2890052 00011303
	s_and_b32 s82, s82, 0xffffff                               // 00000000DB78: 8652FF52 00FFFFFF
	s_cmp_lt_u32 s82, s66                                      // 00000000DB80: BF0A4252
	s_cselect_b32 s21, s36, s60                                // 00000000DB84: 85153C24
	s_mov_b64 exec, s[20:21]                                   // 00000000DB88: BEFE0114
	buffer_store_dword v92, v6, s[8:11], 0 offen               // 00000000DB8C: E0701000 80025C06
	buffer_store_dword v94, v6, s[8:11], 0 offen offset:128    // 00000000DB94: E0701080 80025E06
	s_mov_b64 exec, s[36:37]                                   // 00000000DB9C: BEFE0124
	v_mov_b32_e32 v6, v69                                      // 00000000DBA0: 7E0C0345
	s_mov_b64 s[60:61], 0                                      // 00000000DBA4: BEBC0180
	v_readlane_b32 s82, v3, 10                                 // 00000000DBA8: D2890052 00011503
	s_and_b32 s82, s82, 0xffffff                               // 00000000DBB0: 8652FF52 00FFFFFF
	s_cmp_lt_u32 s82, s66                                      // 00000000DBB8: BF0A4252
	s_cselect_b32 s20, s36, s60                                // 00000000DBBC: 85143C24
	v_readlane_b32 s82, v3, 11                                 // 00000000DBC0: D2890052 00011703
	s_and_b32 s82, s82, 0xffffff                               // 00000000DBC8: 8652FF52 00FFFFFF
	s_cmp_lt_u32 s82, s66                                      // 00000000DBD0: BF0A4252
	s_cselect_b32 s21, s36, s60                                // 00000000DBD4: 85153C24
	s_mov_b64 exec, s[20:21]                                   // 00000000DBD8: BEFE0114
	buffer_store_dword v93, v6, s[8:11], 0 offen               // 00000000DBDC: E0701000 80025D06
	buffer_store_dword v95, v6, s[8:11], 0 offen offset:128    // 00000000DBE4: E0701080 80025F06
	s_mov_b64 exec, s[36:37]                                   // 00000000DBEC: BEFE0124
	v_mov_b32_e32 v6, v70                                      // 00000000DBF0: 7E0C0346
	s_mov_b64 s[60:61], 0                                      // 00000000DBF4: BEBC0180
	v_readlane_b32 s82, v3, 12                                 // 00000000DBF8: D2890052 00011903
	s_and_b32 s82, s82, 0xffffff                               // 00000000DC00: 8652FF52 00FFFFFF
	s_cmp_lt_u32 s82, s66                                      // 00000000DC08: BF0A4252
	s_cselect_b32 s20, s36, s60                                // 00000000DC0C: 85143C24
	v_readlane_b32 s82, v3, 13                                 // 00000000DC10: D2890052 00011B03
	s_and_b32 s82, s82, 0xffffff                               // 00000000DC18: 8652FF52 00FFFFFF
	s_cmp_lt_u32 s82, s66                                      // 00000000DC20: BF0A4252
	s_cselect_b32 s21, s36, s60                                // 00000000DC24: 85153C24
	s_mov_b64 exec, s[20:21]                                   // 00000000DC28: BEFE0114
	buffer_store_dword v96, v6, s[8:11], 0 offen               // 00000000DC2C: E0701000 80026006
	buffer_store_dword v98, v6, s[8:11], 0 offen offset:128    // 00000000DC34: E0701080 80026206
	s_mov_b64 exec, s[36:37]                                   // 00000000DC3C: BEFE0124
	v_mov_b32_e32 v6, v71                                      // 00000000DC40: 7E0C0347
	s_mov_b64 s[60:61], 0                                      // 00000000DC44: BEBC0180
	v_readlane_b32 s82, v3, 14                                 // 00000000DC48: D2890052 00011D03
	s_and_b32 s82, s82, 0xffffff                               // 00000000DC50: 8652FF52 00FFFFFF
	s_cmp_lt_u32 s82, s66                                      // 00000000DC58: BF0A4252
	s_cselect_b32 s20, s36, s60                                // 00000000DC5C: 85143C24
	v_readlane_b32 s82, v3, 15                                 // 00000000DC60: D2890052 00011F03
	s_and_b32 s82, s82, 0xffffff                               // 00000000DC68: 8652FF52 00FFFFFF
	s_cmp_lt_u32 s82, s66                                      // 00000000DC70: BF0A4252
	s_cselect_b32 s21, s36, s60                                // 00000000DC74: 85153C24
	s_mov_b64 exec, s[20:21]                                   // 00000000DC78: BEFE0114
	buffer_store_dword v97, v6, s[8:11], 0 offen               // 00000000DC7C: E0701000 80026106
	buffer_store_dword v99, v6, s[8:11], 0 offen offset:128    // 00000000DC84: E0701080 80026306
	s_mov_b64 exec, s[36:37]                                   // 00000000DC8C: BEFE0124
	v_mov_b32_e32 v6, v72                                      // 00000000DC90: 7E0C0348
	s_mov_b64 s[60:61], 0                                      // 00000000DC94: BEBC0180
	v_readlane_b32 s82, v3, 16                                 // 00000000DC98: D2890052 00012103
	s_and_b32 s82, s82, 0xffffff                               // 00000000DCA0: 8652FF52 00FFFFFF
	s_cmp_lt_u32 s82, s66                                      // 00000000DCA8: BF0A4252
	s_cselect_b32 s20, s36, s60                                // 00000000DCAC: 85143C24
	v_readlane_b32 s82, v3, 17                                 // 00000000DCB0: D2890052 00012303
	s_and_b32 s82, s82, 0xffffff                               // 00000000DCB8: 8652FF52 00FFFFFF
	s_cmp_lt_u32 s82, s66                                      // 00000000DCC0: BF0A4252
	s_cselect_b32 s21, s36, s60                                // 00000000DCC4: 85153C24
	s_mov_b64 exec, s[20:21]                                   // 00000000DCC8: BEFE0114
	buffer_store_dword v100, v6, s[8:11], 0 offen              // 00000000DCCC: E0701000 80026406
	buffer_store_dword v102, v6, s[8:11], 0 offen offset:128   // 00000000DCD4: E0701080 80026606
	s_mov_b64 exec, s[36:37]                                   // 00000000DCDC: BEFE0124
	v_mov_b32_e32 v6, v73                                      // 00000000DCE0: 7E0C0349
	s_mov_b64 s[60:61], 0                                      // 00000000DCE4: BEBC0180
	v_readlane_b32 s82, v3, 18                                 // 00000000DCE8: D2890052 00012503
	s_and_b32 s82, s82, 0xffffff                               // 00000000DCF0: 8652FF52 00FFFFFF
	s_cmp_lt_u32 s82, s66                                      // 00000000DCF8: BF0A4252
	s_cselect_b32 s20, s36, s60                                // 00000000DCFC: 85143C24
	v_readlane_b32 s82, v3, 19                                 // 00000000DD00: D2890052 00012703
	s_and_b32 s82, s82, 0xffffff                               // 00000000DD08: 8652FF52 00FFFFFF
	s_cmp_lt_u32 s82, s66                                      // 00000000DD10: BF0A4252
	s_cselect_b32 s21, s36, s60                                // 00000000DD14: 85153C24
	s_mov_b64 exec, s[20:21]                                   // 00000000DD18: BEFE0114
	buffer_store_dword v101, v6, s[8:11], 0 offen              // 00000000DD1C: E0701000 80026506
	buffer_store_dword v103, v6, s[8:11], 0 offen offset:128   // 00000000DD24: E0701080 80026706
	s_mov_b64 exec, s[36:37]                                   // 00000000DD2C: BEFE0124
	v_mov_b32_e32 v6, v74                                      // 00000000DD30: 7E0C034A
	s_mov_b64 s[60:61], 0                                      // 00000000DD34: BEBC0180
	v_readlane_b32 s82, v3, 20                                 // 00000000DD38: D2890052 00012903
	s_and_b32 s82, s82, 0xffffff                               // 00000000DD40: 8652FF52 00FFFFFF
	s_cmp_lt_u32 s82, s66                                      // 00000000DD48: BF0A4252
	s_cselect_b32 s20, s36, s60                                // 00000000DD4C: 85143C24
	v_readlane_b32 s82, v3, 21                                 // 00000000DD50: D2890052 00012B03
	s_and_b32 s82, s82, 0xffffff                               // 00000000DD58: 8652FF52 00FFFFFF
	s_cmp_lt_u32 s82, s66                                      // 00000000DD60: BF0A4252
	s_cselect_b32 s21, s36, s60                                // 00000000DD64: 85153C24
	s_mov_b64 exec, s[20:21]                                   // 00000000DD68: BEFE0114
	buffer_store_dword v104, v6, s[8:11], 0 offen              // 00000000DD6C: E0701000 80026806
	buffer_store_dword v106, v6, s[8:11], 0 offen offset:128   // 00000000DD74: E0701080 80026A06
	s_mov_b64 exec, s[36:37]                                   // 00000000DD7C: BEFE0124
	v_mov_b32_e32 v6, v75                                      // 00000000DD80: 7E0C034B
	s_mov_b64 s[60:61], 0                                      // 00000000DD84: BEBC0180
	v_readlane_b32 s82, v3, 22                                 // 00000000DD88: D2890052 00012D03
	s_and_b32 s82, s82, 0xffffff                               // 00000000DD90: 8652FF52 00FFFFFF
	s_cmp_lt_u32 s82, s66                                      // 00000000DD98: BF0A4252
	s_cselect_b32 s20, s36, s60                                // 00000000DD9C: 85143C24
	v_readlane_b32 s82, v3, 23                                 // 00000000DDA0: D2890052 00012F03
	s_and_b32 s82, s82, 0xffffff                               // 00000000DDA8: 8652FF52 00FFFFFF
	s_cmp_lt_u32 s82, s66                                      // 00000000DDB0: BF0A4252
	s_cselect_b32 s21, s36, s60                                // 00000000DDB4: 85153C24
	s_mov_b64 exec, s[20:21]                                   // 00000000DDB8: BEFE0114
	buffer_store_dword v105, v6, s[8:11], 0 offen              // 00000000DDBC: E0701000 80026906
	buffer_store_dword v107, v6, s[8:11], 0 offen offset:128   // 00000000DDC4: E0701080 80026B06
	s_mov_b64 exec, s[36:37]                                   // 00000000DDCC: BEFE0124
	v_mov_b32_e32 v6, v76                                      // 00000000DDD0: 7E0C034C
	s_mov_b64 s[60:61], 0                                      // 00000000DDD4: BEBC0180
	v_readlane_b32 s82, v3, 24                                 // 00000000DDD8: D2890052 00013103
	s_and_b32 s82, s82, 0xffffff                               // 00000000DDE0: 8652FF52 00FFFFFF
	s_cmp_lt_u32 s82, s66                                      // 00000000DDE8: BF0A4252
	s_cselect_b32 s20, s36, s60                                // 00000000DDEC: 85143C24
	v_readlane_b32 s82, v3, 25                                 // 00000000DDF0: D2890052 00013303
	s_and_b32 s82, s82, 0xffffff                               // 00000000DDF8: 8652FF52 00FFFFFF
	s_cmp_lt_u32 s82, s66                                      // 00000000DE00: BF0A4252
	s_cselect_b32 s21, s36, s60                                // 00000000DE04: 85153C24
	s_mov_b64 exec, s[20:21]                                   // 00000000DE08: BEFE0114
	buffer_store_dword v108, v6, s[8:11], 0 offen              // 00000000DE0C: E0701000 80026C06
	buffer_store_dword v110, v6, s[8:11], 0 offen offset:128   // 00000000DE14: E0701080 80026E06
	s_mov_b64 exec, s[36:37]                                   // 00000000DE1C: BEFE0124
	v_mov_b32_e32 v6, v77                                      // 00000000DE20: 7E0C034D
	s_mov_b64 s[60:61], 0                                      // 00000000DE24: BEBC0180
	v_readlane_b32 s82, v3, 26                                 // 00000000DE28: D2890052 00013503
	s_and_b32 s82, s82, 0xffffff                               // 00000000DE30: 8652FF52 00FFFFFF
	s_cmp_lt_u32 s82, s66                                      // 00000000DE38: BF0A4252
	s_cselect_b32 s20, s36, s60                                // 00000000DE3C: 85143C24
	v_readlane_b32 s82, v3, 27                                 // 00000000DE40: D2890052 00013703
	s_and_b32 s82, s82, 0xffffff                               // 00000000DE48: 8652FF52 00FFFFFF
	s_cmp_lt_u32 s82, s66                                      // 00000000DE50: BF0A4252
	s_cselect_b32 s21, s36, s60                                // 00000000DE54: 85153C24
	s_mov_b64 exec, s[20:21]                                   // 00000000DE58: BEFE0114
	buffer_store_dword v109, v6, s[8:11], 0 offen              // 00000000DE5C: E0701000 80026D06
	buffer_store_dword v111, v6, s[8:11], 0 offen offset:128   // 00000000DE64: E0701080 80026F06
	s_mov_b64 exec, s[36:37]                                   // 00000000DE6C: BEFE0124
	v_mov_b32_e32 v6, v78                                      // 00000000DE70: 7E0C034E
	s_mov_b64 s[60:61], 0                                      // 00000000DE74: BEBC0180
	v_readlane_b32 s82, v3, 28                                 // 00000000DE78: D2890052 00013903
	s_and_b32 s82, s82, 0xffffff                               // 00000000DE80: 8652FF52 00FFFFFF
	s_cmp_lt_u32 s82, s66                                      // 00000000DE88: BF0A4252
	s_cselect_b32 s20, s36, s60                                // 00000000DE8C: 85143C24
	v_readlane_b32 s82, v3, 29                                 // 00000000DE90: D2890052 00013B03
	s_and_b32 s82, s82, 0xffffff                               // 00000000DE98: 8652FF52 00FFFFFF
	s_cmp_lt_u32 s82, s66                                      // 00000000DEA0: BF0A4252
	s_cselect_b32 s21, s36, s60                                // 00000000DEA4: 85153C24
	s_mov_b64 exec, s[20:21]                                   // 00000000DEA8: BEFE0114
	buffer_store_dword v112, v6, s[8:11], 0 offen              // 00000000DEAC: E0701000 80027006
	buffer_store_dword v114, v6, s[8:11], 0 offen offset:128   // 00000000DEB4: E0701080 80027206
	s_mov_b64 exec, s[36:37]                                   // 00000000DEBC: BEFE0124
	v_mov_b32_e32 v6, v79                                      // 00000000DEC0: 7E0C034F
	s_mov_b64 s[60:61], 0                                      // 00000000DEC4: BEBC0180
	v_readlane_b32 s82, v3, 30                                 // 00000000DEC8: D2890052 00013D03
	s_and_b32 s82, s82, 0xffffff                               // 00000000DED0: 8652FF52 00FFFFFF
	s_cmp_lt_u32 s82, s66                                      // 00000000DED8: BF0A4252
	s_cselect_b32 s20, s36, s60                                // 00000000DEDC: 85143C24
	v_readlane_b32 s82, v3, 31                                 // 00000000DEE0: D2890052 00013F03
	s_and_b32 s82, s82, 0xffffff                               // 00000000DEE8: 8652FF52 00FFFFFF
	s_cmp_lt_u32 s82, s66                                      // 00000000DEF0: BF0A4252
	s_cselect_b32 s21, s36, s60                                // 00000000DEF4: 85153C24
	s_mov_b64 exec, s[20:21]                                   // 00000000DEF8: BEFE0114
	buffer_store_dword v113, v6, s[8:11], 0 offen              // 00000000DEFC: E0701000 80027106
	buffer_store_dword v115, v6, s[8:11], 0 offen offset:128   // 00000000DF04: E0701080 80027306
	s_mov_b64 exec, s[36:37]                                   // 00000000DF0C: BEFE0124
	v_mov_b32_e32 v6, v80                                      // 00000000DF10: 7E0C0350
	s_mov_b64 s[60:61], 0                                      // 00000000DF14: BEBC0180
	v_readlane_b32 s82, v3, 32                                 // 00000000DF18: D2890052 00014103
	s_and_b32 s82, s82, 0xffffff                               // 00000000DF20: 8652FF52 00FFFFFF
	s_cmp_lt_u32 s82, s66                                      // 00000000DF28: BF0A4252
	s_cselect_b32 s20, s36, s60                                // 00000000DF2C: 85143C24
	v_readlane_b32 s82, v3, 33                                 // 00000000DF30: D2890052 00014303
	s_and_b32 s82, s82, 0xffffff                               // 00000000DF38: 8652FF52 00FFFFFF
	s_cmp_lt_u32 s82, s66                                      // 00000000DF40: BF0A4252
	s_cselect_b32 s21, s36, s60                                // 00000000DF44: 85153C24
	s_mov_b64 exec, s[20:21]                                   // 00000000DF48: BEFE0114
	buffer_store_dword v116, v6, s[8:11], 0 offen              // 00000000DF4C: E0701000 80027406
	buffer_store_dword v118, v6, s[8:11], 0 offen offset:128   // 00000000DF54: E0701080 80027606
	s_mov_b64 exec, s[36:37]                                   // 00000000DF5C: BEFE0124
	v_mov_b32_e32 v6, v81                                      // 00000000DF60: 7E0C0351
	s_mov_b64 s[60:61], 0                                      // 00000000DF64: BEBC0180
	v_readlane_b32 s82, v3, 34                                 // 00000000DF68: D2890052 00014503
	s_and_b32 s82, s82, 0xffffff                               // 00000000DF70: 8652FF52 00FFFFFF
	s_cmp_lt_u32 s82, s66                                      // 00000000DF78: BF0A4252
	s_cselect_b32 s20, s36, s60                                // 00000000DF7C: 85143C24
	v_readlane_b32 s82, v3, 35                                 // 00000000DF80: D2890052 00014703
	s_and_b32 s82, s82, 0xffffff                               // 00000000DF88: 8652FF52 00FFFFFF
	s_cmp_lt_u32 s82, s66                                      // 00000000DF90: BF0A4252
	s_cselect_b32 s21, s36, s60                                // 00000000DF94: 85153C24
	s_mov_b64 exec, s[20:21]                                   // 00000000DF98: BEFE0114
	buffer_store_dword v117, v6, s[8:11], 0 offen              // 00000000DF9C: E0701000 80027506
	buffer_store_dword v119, v6, s[8:11], 0 offen offset:128   // 00000000DFA4: E0701080 80027706
	s_mov_b64 exec, s[36:37]                                   // 00000000DFAC: BEFE0124
	s_branch label_3676                                        // 00000000DFB0: BF820906

000000000000dfb4 <label_2D70>:
	ds_write_b64 v20, v[84:85]                                 // 00000000DFB4: D89A0000 00005414
	ds_write_b64 v20, v[88:89] offset:4352                     // 00000000DFBC: D89A1100 00005814
	ds_write_b64 v20, v[92:93] offset:8704                     // 00000000DFC4: D89A2200 00005C14
	ds_write_b64 v20, v[96:97] offset:13056                    // 00000000DFCC: D89A3300 00006014
	ds_write_b64 v20, v[100:101] offset:17408                  // 00000000DFD4: D89A4400 00006414
	ds_write_b64 v20, v[104:105] offset:21760                  // 00000000DFDC: D89A5500 00006814
	ds_write_b64 v20, v[108:109] offset:26112                  // 00000000DFE4: D89A6600 00006C14
	ds_write_b64 v20, v[112:113] offset:30464                  // 00000000DFEC: D89A7700 00007014
	ds_write_b64 v20, v[116:117] offset:34816                  // 00000000DFF4: D89A8800 00007414
	ds_write_b64 v20, v[120:121] offset:2176                   // 00000000DFFC: D89A0880 00007814
	ds_write_b64 v20, v[124:125] offset:6528                   // 00000000E004: D89A1980 00007C14
	ds_write_b64 v20, v[128:129] offset:10880                  // 00000000E00C: D89A2A80 00008014
	ds_write_b64 v20, v[132:133] offset:15232                  // 00000000E014: D89A3B80 00008414
	ds_write_b64 v20, v[136:137] offset:19584                  // 00000000E01C: D89A4C80 00008814
	ds_write_b64 v20, v[140:141] offset:23936                  // 00000000E024: D89A5D80 00008C14
	ds_write_b64 v20, v[144:145] offset:28288                  // 00000000E02C: D89A6E80 00009014
	ds_write_b64 v20, v[148:149] offset:32640                  // 00000000E034: D89A7F80 00009414
	ds_write_b64 v20, v[152:153] offset:36992                  // 00000000E03C: D89A9080 00009814
	v_lshrrev_b32_e32 v4, 5, v0                                // 00000000E044: 20080085
	v_xor_b32_e32 v5, 1, v4                                    // 00000000E048: 2A0A0881
	s_mul_i32 s60, s65, 2                                      // 00000000E04C: 923C8241
	s_cmp_eq_u32 s88, 0                                        // 00000000E050: BF068058
	s_cselect_b32 s61, 1, 4                                    // 00000000E054: 853D8481
	s_mul_i32 s60, s61, s60                                    // 00000000E058: 923C3C3D
	v_readlane_b32 s82, v3, 0                                  // 00000000E05C: D2890052 00010103
	s_lshr_b32 s61, s82, 24                                    // 00000000E064: 8F3D9852
	s_and_b32 s82, s82, 0xffffff                               // 00000000E068: 8652FF52 00FFFFFF
	s_mul_i32 s82, s82, s71                                    // 00000000E070: 92524752
	s_mul_i32 s61, s60, s61                                    // 00000000E074: 923D3D3C
	s_add_u32 s82, s82, s61                                    // 00000000E078: 80523D52
	v_mul_lo_u32 v6, v5, s82                                   // 00000000E07C: D2850006 0000A505
	v_readlane_b32 s82, v3, 1                                  // 00000000E084: D2890052 00010303
	s_lshr_b32 s61, s82, 24                                    // 00000000E08C: 8F3D9852
	s_and_b32 s82, s82, 0xffffff                               // 00000000E090: 8652FF52 00FFFFFF
	s_mul_i32 s82, s82, s71                                    // 00000000E098: 92524752
	s_mul_i32 s61, s60, s61                                    // 00000000E09C: 923D3D3C
	s_add_u32 s82, s82, s61                                    // 00000000E0A0: 80523D52
	v_mul_lo_u32 v7, v4, s82                                   // 00000000E0A4: D2850007 0000A504
	v_add_u32_e32 v64, v6, v7                                  // 00000000E0AC: 68800F06
	v_readlane_b32 s82, v3, 2                                  // 00000000E0B0: D2890052 00010503
	s_lshr_b32 s61, s82, 24                                    // 00000000E0B8: 8F3D9852
	s_and_b32 s82, s82, 0xffffff                               // 00000000E0BC: 8652FF52 00FFFFFF
	s_mul_i32 s82, s82, s71                                    // 00000000E0C4: 92524752
	s_mul_i32 s61, s60, s61                                    // 00000000E0C8: 923D3D3C
	s_add_u32 s82, s82, s61                                    // 00000000E0CC: 80523D52
	v_mul_lo_u32 v6, v5, s82                                   // 00000000E0D0: D2850006 0000A505
	v_readlane_b32 s82, v3, 3                                  // 00000000E0D8: D2890052 00010703
	s_lshr_b32 s61, s82, 24                                    // 00000000E0E0: 8F3D9852
	s_and_b32 s82, s82, 0xffffff                               // 00000000E0E4: 8652FF52 00FFFFFF
	s_mul_i32 s82, s82, s71                                    // 00000000E0EC: 92524752
	s_mul_i32 s61, s60, s61                                    // 00000000E0F0: 923D3D3C
	s_add_u32 s82, s82, s61                                    // 00000000E0F4: 80523D52
	v_mul_lo_u32 v7, v4, s82                                   // 00000000E0F8: D2850007 0000A504
	v_add_u32_e32 v65, v6, v7                                  // 00000000E100: 68820F06
	v_readlane_b32 s82, v3, 4                                  // 00000000E104: D2890052 00010903
	s_lshr_b32 s61, s82, 24                                    // 00000000E10C: 8F3D9852
	s_and_b32 s82, s82, 0xffffff                               // 00000000E110: 8652FF52 00FFFFFF
	s_mul_i32 s82, s82, s71                                    // 00000000E118: 92524752
	s_mul_i32 s61, s60, s61                                    // 00000000E11C: 923D3D3C
	s_add_u32 s82, s82, s61                                    // 00000000E120: 80523D52
	v_mul_lo_u32 v6, v5, s82                                   // 00000000E124: D2850006 0000A505
	v_readlane_b32 s82, v3, 5                                  // 00000000E12C: D2890052 00010B03
	s_lshr_b32 s61, s82, 24                                    // 00000000E134: 8F3D9852
	s_and_b32 s82, s82, 0xffffff                               // 00000000E138: 8652FF52 00FFFFFF
	s_mul_i32 s82, s82, s71                                    // 00000000E140: 92524752
	s_mul_i32 s61, s60, s61                                    // 00000000E144: 923D3D3C
	s_add_u32 s82, s82, s61                                    // 00000000E148: 80523D52
	v_mul_lo_u32 v7, v4, s82                                   // 00000000E14C: D2850007 0000A504
	v_add_u32_e32 v66, v6, v7                                  // 00000000E154: 68840F06
	v_readlane_b32 s82, v3, 6                                  // 00000000E158: D2890052 00010D03
	s_lshr_b32 s61, s82, 24                                    // 00000000E160: 8F3D9852
	s_and_b32 s82, s82, 0xffffff                               // 00000000E164: 8652FF52 00FFFFFF
	s_mul_i32 s82, s82, s71                                    // 00000000E16C: 92524752
	s_mul_i32 s61, s60, s61                                    // 00000000E170: 923D3D3C
	s_add_u32 s82, s82, s61                                    // 00000000E174: 80523D52
	v_mul_lo_u32 v6, v5, s82                                   // 00000000E178: D2850006 0000A505
	v_readlane_b32 s82, v3, 7                                  // 00000000E180: D2890052 00010F03
	s_lshr_b32 s61, s82, 24                                    // 00000000E188: 8F3D9852
	s_and_b32 s82, s82, 0xffffff                               // 00000000E18C: 8652FF52 00FFFFFF
	s_mul_i32 s82, s82, s71                                    // 00000000E194: 92524752
	s_mul_i32 s61, s60, s61                                    // 00000000E198: 923D3D3C
	s_add_u32 s82, s82, s61                                    // 00000000E19C: 80523D52
	v_mul_lo_u32 v7, v4, s82                                   // 00000000E1A0: D2850007 0000A504
	v_add_u32_e32 v67, v6, v7                                  // 00000000E1A8: 68860F06
	v_readlane_b32 s82, v3, 8                                  // 00000000E1AC: D2890052 00011103
	s_lshr_b32 s61, s82, 24                                    // 00000000E1B4: 8F3D9852
	s_and_b32 s82, s82, 0xffffff                               // 00000000E1B8: 8652FF52 00FFFFFF
	s_mul_i32 s82, s82, s71                                    // 00000000E1C0: 92524752
	s_mul_i32 s61, s60, s61                                    // 00000000E1C4: 923D3D3C
	s_add_u32 s82, s82, s61                                    // 00000000E1C8: 80523D52
	v_mul_lo_u32 v6, v5, s82                                   // 00000000E1CC: D2850006 0000A505
	v_readlane_b32 s82, v3, 9                                  // 00000000E1D4: D2890052 00011303
	s_lshr_b32 s61, s82, 24                                    // 00000000E1DC: 8F3D9852
	s_and_b32 s82, s82, 0xffffff                               // 00000000E1E0: 8652FF52 00FFFFFF
	s_mul_i32 s82, s82, s71                                    // 00000000E1E8: 92524752
	s_mul_i32 s61, s60, s61                                    // 00000000E1EC: 923D3D3C
	s_add_u32 s82, s82, s61                                    // 00000000E1F0: 80523D52
	v_mul_lo_u32 v7, v4, s82                                   // 00000000E1F4: D2850007 0000A504
	v_add_u32_e32 v68, v6, v7                                  // 00000000E1FC: 68880F06
	v_readlane_b32 s82, v3, 10                                 // 00000000E200: D2890052 00011503
	s_lshr_b32 s61, s82, 24                                    // 00000000E208: 8F3D9852
	s_and_b32 s82, s82, 0xffffff                               // 00000000E20C: 8652FF52 00FFFFFF
	s_mul_i32 s82, s82, s71                                    // 00000000E214: 92524752
	s_mul_i32 s61, s60, s61                                    // 00000000E218: 923D3D3C
	s_add_u32 s82, s82, s61                                    // 00000000E21C: 80523D52
	v_mul_lo_u32 v6, v5, s82                                   // 00000000E220: D2850006 0000A505
	v_readlane_b32 s82, v3, 11                                 // 00000000E228: D2890052 00011703
	s_lshr_b32 s61, s82, 24                                    // 00000000E230: 8F3D9852
	s_and_b32 s82, s82, 0xffffff                               // 00000000E234: 8652FF52 00FFFFFF
	s_mul_i32 s82, s82, s71                                    // 00000000E23C: 92524752
	s_mul_i32 s61, s60, s61                                    // 00000000E240: 923D3D3C
	s_add_u32 s82, s82, s61                                    // 00000000E244: 80523D52
	v_mul_lo_u32 v7, v4, s82                                   // 00000000E248: D2850007 0000A504
	v_add_u32_e32 v69, v6, v7                                  // 00000000E250: 688A0F06
	v_readlane_b32 s82, v3, 12                                 // 00000000E254: D2890052 00011903
	s_lshr_b32 s61, s82, 24                                    // 00000000E25C: 8F3D9852
	s_and_b32 s82, s82, 0xffffff                               // 00000000E260: 8652FF52 00FFFFFF
	s_mul_i32 s82, s82, s71                                    // 00000000E268: 92524752
	s_mul_i32 s61, s60, s61                                    // 00000000E26C: 923D3D3C
	s_add_u32 s82, s82, s61                                    // 00000000E270: 80523D52
	v_mul_lo_u32 v6, v5, s82                                   // 00000000E274: D2850006 0000A505
	v_readlane_b32 s82, v3, 13                                 // 00000000E27C: D2890052 00011B03
	s_lshr_b32 s61, s82, 24                                    // 00000000E284: 8F3D9852
	s_and_b32 s82, s82, 0xffffff                               // 00000000E288: 8652FF52 00FFFFFF
	s_mul_i32 s82, s82, s71                                    // 00000000E290: 92524752
	s_mul_i32 s61, s60, s61                                    // 00000000E294: 923D3D3C
	s_add_u32 s82, s82, s61                                    // 00000000E298: 80523D52
	v_mul_lo_u32 v7, v4, s82                                   // 00000000E29C: D2850007 0000A504
	v_add_u32_e32 v70, v6, v7                                  // 00000000E2A4: 688C0F06
	v_readlane_b32 s82, v3, 14                                 // 00000000E2A8: D2890052 00011D03
	s_lshr_b32 s61, s82, 24                                    // 00000000E2B0: 8F3D9852
	s_and_b32 s82, s82, 0xffffff                               // 00000000E2B4: 8652FF52 00FFFFFF
	s_mul_i32 s82, s82, s71                                    // 00000000E2BC: 92524752
	s_mul_i32 s61, s60, s61                                    // 00000000E2C0: 923D3D3C
	s_add_u32 s82, s82, s61                                    // 00000000E2C4: 80523D52
	v_mul_lo_u32 v6, v5, s82                                   // 00000000E2C8: D2850006 0000A505
	v_readlane_b32 s82, v3, 15                                 // 00000000E2D0: D2890052 00011F03
	s_lshr_b32 s61, s82, 24                                    // 00000000E2D8: 8F3D9852
	s_and_b32 s82, s82, 0xffffff                               // 00000000E2DC: 8652FF52 00FFFFFF
	s_mul_i32 s82, s82, s71                                    // 00000000E2E4: 92524752
	s_mul_i32 s61, s60, s61                                    // 00000000E2E8: 923D3D3C
	s_add_u32 s82, s82, s61                                    // 00000000E2EC: 80523D52
	v_mul_lo_u32 v7, v4, s82                                   // 00000000E2F0: D2850007 0000A504
	v_add_u32_e32 v71, v6, v7                                  // 00000000E2F8: 688E0F06
	v_readlane_b32 s82, v3, 16                                 // 00000000E2FC: D2890052 00012103
	s_lshr_b32 s61, s82, 24                                    // 00000000E304: 8F3D9852
	s_and_b32 s82, s82, 0xffffff                               // 00000000E308: 8652FF52 00FFFFFF
	s_mul_i32 s82, s82, s71                                    // 00000000E310: 92524752
	s_mul_i32 s61, s60, s61                                    // 00000000E314: 923D3D3C
	s_add_u32 s82, s82, s61                                    // 00000000E318: 80523D52
	v_mul_lo_u32 v6, v5, s82                                   // 00000000E31C: D2850006 0000A505
	v_readlane_b32 s82, v3, 17                                 // 00000000E324: D2890052 00012303
	s_lshr_b32 s61, s82, 24                                    // 00000000E32C: 8F3D9852
	s_and_b32 s82, s82, 0xffffff                               // 00000000E330: 8652FF52 00FFFFFF
	s_mul_i32 s82, s82, s71                                    // 00000000E338: 92524752
	s_mul_i32 s61, s60, s61                                    // 00000000E33C: 923D3D3C
	s_add_u32 s82, s82, s61                                    // 00000000E340: 80523D52
	v_mul_lo_u32 v7, v4, s82                                   // 00000000E344: D2850007 0000A504
	v_add_u32_e32 v72, v6, v7                                  // 00000000E34C: 68900F06
	v_readlane_b32 s82, v3, 18                                 // 00000000E350: D2890052 00012503
	s_lshr_b32 s61, s82, 24                                    // 00000000E358: 8F3D9852
	s_and_b32 s82, s82, 0xffffff                               // 00000000E35C: 8652FF52 00FFFFFF
	s_mul_i32 s82, s82, s71                                    // 00000000E364: 92524752
	s_mul_i32 s61, s60, s61                                    // 00000000E368: 923D3D3C
	s_add_u32 s82, s82, s61                                    // 00000000E36C: 80523D52
	v_mul_lo_u32 v6, v5, s82                                   // 00000000E370: D2850006 0000A505
	v_readlane_b32 s82, v3, 19                                 // 00000000E378: D2890052 00012703
	s_lshr_b32 s61, s82, 24                                    // 00000000E380: 8F3D9852
	s_and_b32 s82, s82, 0xffffff                               // 00000000E384: 8652FF52 00FFFFFF
	s_mul_i32 s82, s82, s71                                    // 00000000E38C: 92524752
	s_mul_i32 s61, s60, s61                                    // 00000000E390: 923D3D3C
	s_add_u32 s82, s82, s61                                    // 00000000E394: 80523D52
	v_mul_lo_u32 v7, v4, s82                                   // 00000000E398: D2850007 0000A504
	v_add_u32_e32 v73, v6, v7                                  // 00000000E3A0: 68920F06
	v_readlane_b32 s82, v3, 20                                 // 00000000E3A4: D2890052 00012903
	s_lshr_b32 s61, s82, 24                                    // 00000000E3AC: 8F3D9852
	s_and_b32 s82, s82, 0xffffff                               // 00000000E3B0: 8652FF52 00FFFFFF
	s_mul_i32 s82, s82, s71                                    // 00000000E3B8: 92524752
	s_mul_i32 s61, s60, s61                                    // 00000000E3BC: 923D3D3C
	s_add_u32 s82, s82, s61                                    // 00000000E3C0: 80523D52
	v_mul_lo_u32 v6, v5, s82                                   // 00000000E3C4: D2850006 0000A505
	v_readlane_b32 s82, v3, 21                                 // 00000000E3CC: D2890052 00012B03
	s_lshr_b32 s61, s82, 24                                    // 00000000E3D4: 8F3D9852
	s_and_b32 s82, s82, 0xffffff                               // 00000000E3D8: 8652FF52 00FFFFFF
	s_mul_i32 s82, s82, s71                                    // 00000000E3E0: 92524752
	s_mul_i32 s61, s60, s61                                    // 00000000E3E4: 923D3D3C
	s_add_u32 s82, s82, s61                                    // 00000000E3E8: 80523D52
	v_mul_lo_u32 v7, v4, s82                                   // 00000000E3EC: D2850007 0000A504
	v_add_u32_e32 v74, v6, v7                                  // 00000000E3F4: 68940F06
	v_readlane_b32 s82, v3, 22                                 // 00000000E3F8: D2890052 00012D03
	s_lshr_b32 s61, s82, 24                                    // 00000000E400: 8F3D9852
	s_and_b32 s82, s82, 0xffffff                               // 00000000E404: 8652FF52 00FFFFFF
	s_mul_i32 s82, s82, s71                                    // 00000000E40C: 92524752
	s_mul_i32 s61, s60, s61                                    // 00000000E410: 923D3D3C
	s_add_u32 s82, s82, s61                                    // 00000000E414: 80523D52
	v_mul_lo_u32 v6, v5, s82                                   // 00000000E418: D2850006 0000A505
	v_readlane_b32 s82, v3, 23                                 // 00000000E420: D2890052 00012F03
	s_lshr_b32 s61, s82, 24                                    // 00000000E428: 8F3D9852
	s_and_b32 s82, s82, 0xffffff                               // 00000000E42C: 8652FF52 00FFFFFF
	s_mul_i32 s82, s82, s71                                    // 00000000E434: 92524752
	s_mul_i32 s61, s60, s61                                    // 00000000E438: 923D3D3C
	s_add_u32 s82, s82, s61                                    // 00000000E43C: 80523D52
	v_mul_lo_u32 v7, v4, s82                                   // 00000000E440: D2850007 0000A504
	v_add_u32_e32 v75, v6, v7                                  // 00000000E448: 68960F06
	v_readlane_b32 s82, v3, 24                                 // 00000000E44C: D2890052 00013103
	s_lshr_b32 s61, s82, 24                                    // 00000000E454: 8F3D9852
	s_and_b32 s82, s82, 0xffffff                               // 00000000E458: 8652FF52 00FFFFFF
	s_mul_i32 s82, s82, s71                                    // 00000000E460: 92524752
	s_mul_i32 s61, s60, s61                                    // 00000000E464: 923D3D3C
	s_add_u32 s82, s82, s61                                    // 00000000E468: 80523D52
	v_mul_lo_u32 v6, v5, s82                                   // 00000000E46C: D2850006 0000A505
	v_readlane_b32 s82, v3, 25                                 // 00000000E474: D2890052 00013303
	s_lshr_b32 s61, s82, 24                                    // 00000000E47C: 8F3D9852
	s_and_b32 s82, s82, 0xffffff                               // 00000000E480: 8652FF52 00FFFFFF
	s_mul_i32 s82, s82, s71                                    // 00000000E488: 92524752
	s_mul_i32 s61, s60, s61                                    // 00000000E48C: 923D3D3C
	s_add_u32 s82, s82, s61                                    // 00000000E490: 80523D52
	v_mul_lo_u32 v7, v4, s82                                   // 00000000E494: D2850007 0000A504
	v_add_u32_e32 v76, v6, v7                                  // 00000000E49C: 68980F06
	v_readlane_b32 s82, v3, 26                                 // 00000000E4A0: D2890052 00013503
	s_lshr_b32 s61, s82, 24                                    // 00000000E4A8: 8F3D9852
	s_and_b32 s82, s82, 0xffffff                               // 00000000E4AC: 8652FF52 00FFFFFF
	s_mul_i32 s82, s82, s71                                    // 00000000E4B4: 92524752
	s_mul_i32 s61, s60, s61                                    // 00000000E4B8: 923D3D3C
	s_add_u32 s82, s82, s61                                    // 00000000E4BC: 80523D52
	v_mul_lo_u32 v6, v5, s82                                   // 00000000E4C0: D2850006 0000A505
	v_readlane_b32 s82, v3, 27                                 // 00000000E4C8: D2890052 00013703
	s_lshr_b32 s61, s82, 24                                    // 00000000E4D0: 8F3D9852
	s_and_b32 s82, s82, 0xffffff                               // 00000000E4D4: 8652FF52 00FFFFFF
	s_mul_i32 s82, s82, s71                                    // 00000000E4DC: 92524752
	s_mul_i32 s61, s60, s61                                    // 00000000E4E0: 923D3D3C
	s_add_u32 s82, s82, s61                                    // 00000000E4E4: 80523D52
	v_mul_lo_u32 v7, v4, s82                                   // 00000000E4E8: D2850007 0000A504
	v_add_u32_e32 v77, v6, v7                                  // 00000000E4F0: 689A0F06
	v_readlane_b32 s82, v3, 28                                 // 00000000E4F4: D2890052 00013903
	s_lshr_b32 s61, s82, 24                                    // 00000000E4FC: 8F3D9852
	s_and_b32 s82, s82, 0xffffff                               // 00000000E500: 8652FF52 00FFFFFF
	s_mul_i32 s82, s82, s71                                    // 00000000E508: 92524752
	s_mul_i32 s61, s60, s61                                    // 00000000E50C: 923D3D3C
	s_add_u32 s82, s82, s61                                    // 00000000E510: 80523D52
	v_mul_lo_u32 v6, v5, s82                                   // 00000000E514: D2850006 0000A505
	v_readlane_b32 s82, v3, 29                                 // 00000000E51C: D2890052 00013B03
	s_lshr_b32 s61, s82, 24                                    // 00000000E524: 8F3D9852
	s_and_b32 s82, s82, 0xffffff                               // 00000000E528: 8652FF52 00FFFFFF
	s_mul_i32 s82, s82, s71                                    // 00000000E530: 92524752
	s_mul_i32 s61, s60, s61                                    // 00000000E534: 923D3D3C
	s_add_u32 s82, s82, s61                                    // 00000000E538: 80523D52
	v_mul_lo_u32 v7, v4, s82                                   // 00000000E53C: D2850007 0000A504
	v_add_u32_e32 v78, v6, v7                                  // 00000000E544: 689C0F06
	v_readlane_b32 s82, v3, 30                                 // 00000000E548: D2890052 00013D03
	s_lshr_b32 s61, s82, 24                                    // 00000000E550: 8F3D9852
	s_and_b32 s82, s82, 0xffffff                               // 00000000E554: 8652FF52 00FFFFFF
	s_mul_i32 s82, s82, s71                                    // 00000000E55C: 92524752
	s_mul_i32 s61, s60, s61                                    // 00000000E560: 923D3D3C
	s_add_u32 s82, s82, s61                                    // 00000000E564: 80523D52
	v_mul_lo_u32 v6, v5, s82                                   // 00000000E568: D2850006 0000A505
	v_readlane_b32 s82, v3, 31                                 // 00000000E570: D2890052 00013F03
	s_lshr_b32 s61, s82, 24                                    // 00000000E578: 8F3D9852
	s_and_b32 s82, s82, 0xffffff                               // 00000000E57C: 8652FF52 00FFFFFF
	s_mul_i32 s82, s82, s71                                    // 00000000E584: 92524752
	s_mul_i32 s61, s60, s61                                    // 00000000E588: 923D3D3C
	s_add_u32 s82, s82, s61                                    // 00000000E58C: 80523D52
	v_mul_lo_u32 v7, v4, s82                                   // 00000000E590: D2850007 0000A504
	v_add_u32_e32 v79, v6, v7                                  // 00000000E598: 689E0F06
	v_readlane_b32 s82, v3, 32                                 // 00000000E59C: D2890052 00014103
	s_lshr_b32 s61, s82, 24                                    // 00000000E5A4: 8F3D9852
	s_and_b32 s82, s82, 0xffffff                               // 00000000E5A8: 8652FF52 00FFFFFF
	s_mul_i32 s82, s82, s71                                    // 00000000E5B0: 92524752
	s_mul_i32 s61, s60, s61                                    // 00000000E5B4: 923D3D3C
	s_add_u32 s82, s82, s61                                    // 00000000E5B8: 80523D52
	v_mul_lo_u32 v6, v5, s82                                   // 00000000E5BC: D2850006 0000A505
	v_readlane_b32 s82, v3, 33                                 // 00000000E5C4: D2890052 00014303
	s_lshr_b32 s61, s82, 24                                    // 00000000E5CC: 8F3D9852
	s_and_b32 s82, s82, 0xffffff                               // 00000000E5D0: 8652FF52 00FFFFFF
	s_mul_i32 s82, s82, s71                                    // 00000000E5D8: 92524752
	s_mul_i32 s61, s60, s61                                    // 00000000E5DC: 923D3D3C
	s_add_u32 s82, s82, s61                                    // 00000000E5E0: 80523D52
	v_mul_lo_u32 v7, v4, s82                                   // 00000000E5E4: D2850007 0000A504
	v_add_u32_e32 v80, v6, v7                                  // 00000000E5EC: 68A00F06
	v_readlane_b32 s82, v3, 34                                 // 00000000E5F0: D2890052 00014503
	s_lshr_b32 s61, s82, 24                                    // 00000000E5F8: 8F3D9852
	s_and_b32 s82, s82, 0xffffff                               // 00000000E5FC: 8652FF52 00FFFFFF
	s_mul_i32 s82, s82, s71                                    // 00000000E604: 92524752
	s_mul_i32 s61, s60, s61                                    // 00000000E608: 923D3D3C
	s_add_u32 s82, s82, s61                                    // 00000000E60C: 80523D52
	v_mul_lo_u32 v6, v5, s82                                   // 00000000E610: D2850006 0000A505
	v_readlane_b32 s82, v3, 35                                 // 00000000E618: D2890052 00014703
	s_lshr_b32 s61, s82, 24                                    // 00000000E620: 8F3D9852
	s_and_b32 s82, s82, 0xffffff                               // 00000000E624: 8652FF52 00FFFFFF
	s_mul_i32 s82, s82, s71                                    // 00000000E62C: 92524752
	s_mul_i32 s61, s60, s61                                    // 00000000E630: 923D3D3C
	s_add_u32 s82, s82, s61                                    // 00000000E634: 80523D52
	v_mul_lo_u32 v7, v4, s82                                   // 00000000E638: D2850007 0000A504
	v_add_u32_e32 v81, v6, v7                                  // 00000000E640: 68A20F06
	v_and_b32_e32 v4, 31, v0                                   // 00000000E644: 2608009F
	v_lshrrev_b32_e32 v4, 1, v4                                // 00000000E648: 20080881
	s_cmp_eq_u32 s88, 0                                        // 00000000E64C: BF068058
	s_cselect_b32 s61, 2, 4                                    // 00000000E650: 853D8482
	v_mul_lo_u32 v4, v4, s61                                   // 00000000E654: D2850004 00007B04
	v_and_b32_e64 v5, v0, 1                                    // 00000000E65C: D1130005 00010300
	v_add_u32_e32 v4, v4, v5                                   // 00000000E664: 68080B04
	v_lshlrev_b32_e32 v4, 2, v4                                // 00000000E668: 24080882
	v_add_u32_e32 v64, v64, v4                                 // 00000000E66C: 68800940
	v_add_u32_e32 v65, v65, v4                                 // 00000000E670: 68820941
	v_add_u32_e32 v66, v66, v4                                 // 00000000E674: 68840942
	v_add_u32_e32 v67, v67, v4                                 // 00000000E678: 68860943
	v_add_u32_e32 v68, v68, v4                                 // 00000000E67C: 68880944
	v_add_u32_e32 v69, v69, v4                                 // 00000000E680: 688A0945
	v_add_u32_e32 v70, v70, v4                                 // 00000000E684: 688C0946
	v_add_u32_e32 v71, v71, v4                                 // 00000000E688: 688E0947
	v_add_u32_e32 v72, v72, v4                                 // 00000000E68C: 68900948
	v_add_u32_e32 v73, v73, v4                                 // 00000000E690: 68920949
	v_add_u32_e32 v74, v74, v4                                 // 00000000E694: 6894094A
	v_add_u32_e32 v75, v75, v4                                 // 00000000E698: 6896094B
	v_add_u32_e32 v76, v76, v4                                 // 00000000E69C: 6898094C
	v_add_u32_e32 v77, v77, v4                                 // 00000000E6A0: 689A094D
	v_add_u32_e32 v78, v78, v4                                 // 00000000E6A4: 689C094E
	v_add_u32_e32 v79, v79, v4                                 // 00000000E6A8: 689E094F
	v_add_u32_e32 v80, v80, v4                                 // 00000000E6AC: 68A00950
	v_add_u32_e32 v81, v81, v4                                 // 00000000E6B0: 68A20951
	s_waitcnt lgkmcnt(0)                                       // 00000000E6B4: BF8CC07F
	s_barrier                                                  // 00000000E6B8: BF8A0000
	ds_read_b32 v84, v21                                       // 00000000E6BC: D86C0000 54000015
	ds_read_b32 v85, v21 offset:64                             // 00000000E6C4: D86C0040 55000015
	ds_read_b32 v88, v21 offset:2176                           // 00000000E6CC: D86C0880 58000015
	ds_read_b32 v89, v21 offset:2240                           // 00000000E6D4: D86C08C0 59000015
	ds_read_b32 v92, v21 offset:4352                           // 00000000E6DC: D86C1100 5C000015
	ds_read_b32 v93, v21 offset:4416                           // 00000000E6E4: D86C1140 5D000015
	ds_read_b32 v96, v21 offset:6528                           // 00000000E6EC: D86C1980 60000015
	ds_read_b32 v97, v21 offset:6592                           // 00000000E6F4: D86C19C0 61000015
	ds_read_b32 v100, v21 offset:8704                          // 00000000E6FC: D86C2200 64000015
	ds_read_b32 v101, v21 offset:8768                          // 00000000E704: D86C2240 65000015
	ds_read_b32 v104, v21 offset:10880                         // 00000000E70C: D86C2A80 68000015
	ds_read_b32 v105, v21 offset:10944                         // 00000000E714: D86C2AC0 69000015
	ds_read_b32 v108, v21 offset:13056                         // 00000000E71C: D86C3300 6C000015
	ds_read_b32 v109, v21 offset:13120                         // 00000000E724: D86C3340 6D000015
	ds_read_b32 v112, v21 offset:15232                         // 00000000E72C: D86C3B80 70000015
	ds_read_b32 v113, v21 offset:15296                         // 00000000E734: D86C3BC0 71000015
	ds_read_b32 v116, v21 offset:17408                         // 00000000E73C: D86C4400 74000015
	ds_read_b32 v117, v21 offset:17472                         // 00000000E744: D86C4440 75000015
	ds_read_b32 v120, v21 offset:19584                         // 00000000E74C: D86C4C80 78000015
	ds_read_b32 v121, v21 offset:19648                         // 00000000E754: D86C4CC0 79000015
	ds_read_b32 v124, v21 offset:21760                         // 00000000E75C: D86C5500 7C000015
	ds_read_b32 v125, v21 offset:21824                         // 00000000E764: D86C5540 7D000015
	ds_read_b32 v128, v21 offset:23936                         // 00000000E76C: D86C5D80 80000015
	ds_read_b32 v129, v21 offset:24000                         // 00000000E774: D86C5DC0 81000015
	ds_read_b32 v132, v21 offset:26112                         // 00000000E77C: D86C6600 84000015
	ds_read_b32 v133, v21 offset:26176                         // 00000000E784: D86C6640 85000015
	ds_read_b32 v136, v21 offset:28288                         // 00000000E78C: D86C6E80 88000015
	ds_read_b32 v137, v21 offset:28352                         // 00000000E794: D86C6EC0 89000015
	ds_read_b32 v140, v21 offset:30464                         // 00000000E79C: D86C7700 8C000015
	ds_read_b32 v141, v21 offset:30528                         // 00000000E7A4: D86C7740 8D000015
	ds_read_b32 v144, v21 offset:32640                         // 00000000E7AC: D86C7F80 90000015
	ds_read_b32 v145, v21 offset:32704                         // 00000000E7B4: D86C7FC0 91000015
	ds_read_b32 v148, v21 offset:34816                         // 00000000E7BC: D86C8800 94000015
	ds_read_b32 v149, v21 offset:34880                         // 00000000E7C4: D86C8840 95000015
	ds_read_b32 v152, v21 offset:36992                         // 00000000E7CC: D86C9080 98000015
	ds_read_b32 v153, v21 offset:37056                         // 00000000E7D4: D86C90C0 99000015
	s_waitcnt lgkmcnt(0)                                       // 00000000E7DC: BF8CC07F
	s_mov_b32 s36, -1                                          // 00000000E7E0: BEA400C1
	s_mov_b32 s37, -1                                          // 00000000E7E4: BEA500C1
	v_mov_b32_e32 v7, 0                                        // 00000000E7E8: 7E0E0280
	s_mov_b64 exec, s[36:37]                                   // 00000000E7EC: BEFE0124
	v_mov_b32_e32 v6, v64                                      // 00000000E7F0: 7E0C0340
	s_mov_b64 s[60:61], 0                                      // 00000000E7F4: BEBC0180
	v_readlane_b32 s82, v3, 0                                  // 00000000E7F8: D2890052 00010103
	s_and_b32 s82, s82, 0xffffff                               // 00000000E800: 8652FF52 00FFFFFF
	s_cmp_lt_u32 s82, s66                                      // 00000000E808: BF0A4252
	s_cselect_b32 s20, s36, s60                                // 00000000E80C: 85143C24
	v_readlane_b32 s82, v3, 1                                  // 00000000E810: D2890052 00010303
	s_and_b32 s82, s82, 0xffffff                               // 00000000E818: 8652FF52 00FFFFFF
	s_cmp_lt_u32 s82, s66                                      // 00000000E820: BF0A4252
	s_cselect_b32 s21, s36, s60                                // 00000000E824: 85153C24
	s_mov_b64 exec, s[20:21]                                   // 00000000E828: BEFE0114
	global_atomic_add_f32 v6, v84, s[8:9]                      // 00000000E82C: DD348000 00085406
	global_atomic_add_f32 v6, v88, s[8:9] offset:256           // 00000000E834: DD348100 00085806
	s_mov_b64 exec, s[36:37]                                   // 00000000E83C: BEFE0124
	v_mov_b32_e32 v6, v65                                      // 00000000E840: 7E0C0341
	s_mov_b64 s[60:61], 0                                      // 00000000E844: BEBC0180
	v_readlane_b32 s82, v3, 2                                  // 00000000E848: D2890052 00010503
	s_and_b32 s82, s82, 0xffffff                               // 00000000E850: 8652FF52 00FFFFFF
	s_cmp_lt_u32 s82, s66                                      // 00000000E858: BF0A4252
	s_cselect_b32 s20, s36, s60                                // 00000000E85C: 85143C24
	v_readlane_b32 s82, v3, 3                                  // 00000000E860: D2890052 00010703
	s_and_b32 s82, s82, 0xffffff                               // 00000000E868: 8652FF52 00FFFFFF
	s_cmp_lt_u32 s82, s66                                      // 00000000E870: BF0A4252
	s_cselect_b32 s21, s36, s60                                // 00000000E874: 85153C24
	s_mov_b64 exec, s[20:21]                                   // 00000000E878: BEFE0114
	global_atomic_add_f32 v6, v85, s[8:9]                      // 00000000E87C: DD348000 00085506
	global_atomic_add_f32 v6, v89, s[8:9] offset:256           // 00000000E884: DD348100 00085906
	s_mov_b64 exec, s[36:37]                                   // 00000000E88C: BEFE0124
	v_mov_b32_e32 v6, v66                                      // 00000000E890: 7E0C0342
	s_mov_b64 s[60:61], 0                                      // 00000000E894: BEBC0180
	v_readlane_b32 s82, v3, 4                                  // 00000000E898: D2890052 00010903
	s_and_b32 s82, s82, 0xffffff                               // 00000000E8A0: 8652FF52 00FFFFFF
	s_cmp_lt_u32 s82, s66                                      // 00000000E8A8: BF0A4252
	s_cselect_b32 s20, s36, s60                                // 00000000E8AC: 85143C24
	v_readlane_b32 s82, v3, 5                                  // 00000000E8B0: D2890052 00010B03
	s_and_b32 s82, s82, 0xffffff                               // 00000000E8B8: 8652FF52 00FFFFFF
	s_cmp_lt_u32 s82, s66                                      // 00000000E8C0: BF0A4252
	s_cselect_b32 s21, s36, s60                                // 00000000E8C4: 85153C24
	s_mov_b64 exec, s[20:21]                                   // 00000000E8C8: BEFE0114
	global_atomic_add_f32 v6, v92, s[8:9]                      // 00000000E8CC: DD348000 00085C06
	global_atomic_add_f32 v6, v96, s[8:9] offset:256           // 00000000E8D4: DD348100 00086006
	s_mov_b64 exec, s[36:37]                                   // 00000000E8DC: BEFE0124
	v_mov_b32_e32 v6, v67                                      // 00000000E8E0: 7E0C0343
	s_mov_b64 s[60:61], 0                                      // 00000000E8E4: BEBC0180
	v_readlane_b32 s82, v3, 6                                  // 00000000E8E8: D2890052 00010D03
	s_and_b32 s82, s82, 0xffffff                               // 00000000E8F0: 8652FF52 00FFFFFF
	s_cmp_lt_u32 s82, s66                                      // 00000000E8F8: BF0A4252
	s_cselect_b32 s20, s36, s60                                // 00000000E8FC: 85143C24
	v_readlane_b32 s82, v3, 7                                  // 00000000E900: D2890052 00010F03
	s_and_b32 s82, s82, 0xffffff                               // 00000000E908: 8652FF52 00FFFFFF
	s_cmp_lt_u32 s82, s66                                      // 00000000E910: BF0A4252
	s_cselect_b32 s21, s36, s60                                // 00000000E914: 85153C24
	s_mov_b64 exec, s[20:21]                                   // 00000000E918: BEFE0114
	global_atomic_add_f32 v6, v93, s[8:9]                      // 00000000E91C: DD348000 00085D06
	global_atomic_add_f32 v6, v97, s[8:9] offset:256           // 00000000E924: DD348100 00086106
	s_mov_b64 exec, s[36:37]                                   // 00000000E92C: BEFE0124
	v_mov_b32_e32 v6, v68                                      // 00000000E930: 7E0C0344
	s_mov_b64 s[60:61], 0                                      // 00000000E934: BEBC0180
	v_readlane_b32 s82, v3, 8                                  // 00000000E938: D2890052 00011103
	s_and_b32 s82, s82, 0xffffff                               // 00000000E940: 8652FF52 00FFFFFF
	s_cmp_lt_u32 s82, s66                                      // 00000000E948: BF0A4252
	s_cselect_b32 s20, s36, s60                                // 00000000E94C: 85143C24
	v_readlane_b32 s82, v3, 9                                  // 00000000E950: D2890052 00011303
	s_and_b32 s82, s82, 0xffffff                               // 00000000E958: 8652FF52 00FFFFFF
	s_cmp_lt_u32 s82, s66                                      // 00000000E960: BF0A4252
	s_cselect_b32 s21, s36, s60                                // 00000000E964: 85153C24
	s_mov_b64 exec, s[20:21]                                   // 00000000E968: BEFE0114
	global_atomic_add_f32 v6, v100, s[8:9]                     // 00000000E96C: DD348000 00086406
	global_atomic_add_f32 v6, v104, s[8:9] offset:256          // 00000000E974: DD348100 00086806
	s_mov_b64 exec, s[36:37]                                   // 00000000E97C: BEFE0124
	v_mov_b32_e32 v6, v69                                      // 00000000E980: 7E0C0345
	s_mov_b64 s[60:61], 0                                      // 00000000E984: BEBC0180
	v_readlane_b32 s82, v3, 10                                 // 00000000E988: D2890052 00011503
	s_and_b32 s82, s82, 0xffffff                               // 00000000E990: 8652FF52 00FFFFFF
	s_cmp_lt_u32 s82, s66                                      // 00000000E998: BF0A4252
	s_cselect_b32 s20, s36, s60                                // 00000000E99C: 85143C24
	v_readlane_b32 s82, v3, 11                                 // 00000000E9A0: D2890052 00011703
	s_and_b32 s82, s82, 0xffffff                               // 00000000E9A8: 8652FF52 00FFFFFF
	s_cmp_lt_u32 s82, s66                                      // 00000000E9B0: BF0A4252
	s_cselect_b32 s21, s36, s60                                // 00000000E9B4: 85153C24
	s_mov_b64 exec, s[20:21]                                   // 00000000E9B8: BEFE0114
	global_atomic_add_f32 v6, v101, s[8:9]                     // 00000000E9BC: DD348000 00086506
	global_atomic_add_f32 v6, v105, s[8:9] offset:256          // 00000000E9C4: DD348100 00086906
	s_mov_b64 exec, s[36:37]                                   // 00000000E9CC: BEFE0124
	v_mov_b32_e32 v6, v70                                      // 00000000E9D0: 7E0C0346
	s_mov_b64 s[60:61], 0                                      // 00000000E9D4: BEBC0180
	v_readlane_b32 s82, v3, 12                                 // 00000000E9D8: D2890052 00011903
	s_and_b32 s82, s82, 0xffffff                               // 00000000E9E0: 8652FF52 00FFFFFF
	s_cmp_lt_u32 s82, s66                                      // 00000000E9E8: BF0A4252
	s_cselect_b32 s20, s36, s60                                // 00000000E9EC: 85143C24
	v_readlane_b32 s82, v3, 13                                 // 00000000E9F0: D2890052 00011B03
	s_and_b32 s82, s82, 0xffffff                               // 00000000E9F8: 8652FF52 00FFFFFF
	s_cmp_lt_u32 s82, s66                                      // 00000000EA00: BF0A4252
	s_cselect_b32 s21, s36, s60                                // 00000000EA04: 85153C24
	s_mov_b64 exec, s[20:21]                                   // 00000000EA08: BEFE0114
	global_atomic_add_f32 v6, v108, s[8:9]                     // 00000000EA0C: DD348000 00086C06
	global_atomic_add_f32 v6, v112, s[8:9] offset:256          // 00000000EA14: DD348100 00087006
	s_mov_b64 exec, s[36:37]                                   // 00000000EA1C: BEFE0124
	v_mov_b32_e32 v6, v71                                      // 00000000EA20: 7E0C0347
	s_mov_b64 s[60:61], 0                                      // 00000000EA24: BEBC0180
	v_readlane_b32 s82, v3, 14                                 // 00000000EA28: D2890052 00011D03
	s_and_b32 s82, s82, 0xffffff                               // 00000000EA30: 8652FF52 00FFFFFF
	s_cmp_lt_u32 s82, s66                                      // 00000000EA38: BF0A4252
	s_cselect_b32 s20, s36, s60                                // 00000000EA3C: 85143C24
	v_readlane_b32 s82, v3, 15                                 // 00000000EA40: D2890052 00011F03
	s_and_b32 s82, s82, 0xffffff                               // 00000000EA48: 8652FF52 00FFFFFF
	s_cmp_lt_u32 s82, s66                                      // 00000000EA50: BF0A4252
	s_cselect_b32 s21, s36, s60                                // 00000000EA54: 85153C24
	s_mov_b64 exec, s[20:21]                                   // 00000000EA58: BEFE0114
	global_atomic_add_f32 v6, v109, s[8:9]                     // 00000000EA5C: DD348000 00086D06
	global_atomic_add_f32 v6, v113, s[8:9] offset:256          // 00000000EA64: DD348100 00087106
	s_mov_b64 exec, s[36:37]                                   // 00000000EA6C: BEFE0124
	v_mov_b32_e32 v6, v72                                      // 00000000EA70: 7E0C0348
	s_mov_b64 s[60:61], 0                                      // 00000000EA74: BEBC0180
	v_readlane_b32 s82, v3, 16                                 // 00000000EA78: D2890052 00012103
	s_and_b32 s82, s82, 0xffffff                               // 00000000EA80: 8652FF52 00FFFFFF
	s_cmp_lt_u32 s82, s66                                      // 00000000EA88: BF0A4252
	s_cselect_b32 s20, s36, s60                                // 00000000EA8C: 85143C24
	v_readlane_b32 s82, v3, 17                                 // 00000000EA90: D2890052 00012303
	s_and_b32 s82, s82, 0xffffff                               // 00000000EA98: 8652FF52 00FFFFFF
	s_cmp_lt_u32 s82, s66                                      // 00000000EAA0: BF0A4252
	s_cselect_b32 s21, s36, s60                                // 00000000EAA4: 85153C24
	s_mov_b64 exec, s[20:21]                                   // 00000000EAA8: BEFE0114
	global_atomic_add_f32 v6, v116, s[8:9]                     // 00000000EAAC: DD348000 00087406
	global_atomic_add_f32 v6, v120, s[8:9] offset:256          // 00000000EAB4: DD348100 00087806
	s_mov_b64 exec, s[36:37]                                   // 00000000EABC: BEFE0124
	v_mov_b32_e32 v6, v73                                      // 00000000EAC0: 7E0C0349
	s_mov_b64 s[60:61], 0                                      // 00000000EAC4: BEBC0180
	v_readlane_b32 s82, v3, 18                                 // 00000000EAC8: D2890052 00012503
	s_and_b32 s82, s82, 0xffffff                               // 00000000EAD0: 8652FF52 00FFFFFF
	s_cmp_lt_u32 s82, s66                                      // 00000000EAD8: BF0A4252
	s_cselect_b32 s20, s36, s60                                // 00000000EADC: 85143C24
	v_readlane_b32 s82, v3, 19                                 // 00000000EAE0: D2890052 00012703
	s_and_b32 s82, s82, 0xffffff                               // 00000000EAE8: 8652FF52 00FFFFFF
	s_cmp_lt_u32 s82, s66                                      // 00000000EAF0: BF0A4252
	s_cselect_b32 s21, s36, s60                                // 00000000EAF4: 85153C24
	s_mov_b64 exec, s[20:21]                                   // 00000000EAF8: BEFE0114
	global_atomic_add_f32 v6, v117, s[8:9]                     // 00000000EAFC: DD348000 00087506
	global_atomic_add_f32 v6, v121, s[8:9] offset:256          // 00000000EB04: DD348100 00087906
	s_mov_b64 exec, s[36:37]                                   // 00000000EB0C: BEFE0124
	v_mov_b32_e32 v6, v74                                      // 00000000EB10: 7E0C034A
	s_mov_b64 s[60:61], 0                                      // 00000000EB14: BEBC0180
	v_readlane_b32 s82, v3, 20                                 // 00000000EB18: D2890052 00012903
	s_and_b32 s82, s82, 0xffffff                               // 00000000EB20: 8652FF52 00FFFFFF
	s_cmp_lt_u32 s82, s66                                      // 00000000EB28: BF0A4252
	s_cselect_b32 s20, s36, s60                                // 00000000EB2C: 85143C24
	v_readlane_b32 s82, v3, 21                                 // 00000000EB30: D2890052 00012B03
	s_and_b32 s82, s82, 0xffffff                               // 00000000EB38: 8652FF52 00FFFFFF
	s_cmp_lt_u32 s82, s66                                      // 00000000EB40: BF0A4252
	s_cselect_b32 s21, s36, s60                                // 00000000EB44: 85153C24
	s_mov_b64 exec, s[20:21]                                   // 00000000EB48: BEFE0114
	global_atomic_add_f32 v6, v124, s[8:9]                     // 00000000EB4C: DD348000 00087C06
	global_atomic_add_f32 v6, v128, s[8:9] offset:256          // 00000000EB54: DD348100 00088006
	s_mov_b64 exec, s[36:37]                                   // 00000000EB5C: BEFE0124
	v_mov_b32_e32 v6, v75                                      // 00000000EB60: 7E0C034B
	s_mov_b64 s[60:61], 0                                      // 00000000EB64: BEBC0180
	v_readlane_b32 s82, v3, 22                                 // 00000000EB68: D2890052 00012D03
	s_and_b32 s82, s82, 0xffffff                               // 00000000EB70: 8652FF52 00FFFFFF
	s_cmp_lt_u32 s82, s66                                      // 00000000EB78: BF0A4252
	s_cselect_b32 s20, s36, s60                                // 00000000EB7C: 85143C24
	v_readlane_b32 s82, v3, 23                                 // 00000000EB80: D2890052 00012F03
	s_and_b32 s82, s82, 0xffffff                               // 00000000EB88: 8652FF52 00FFFFFF
	s_cmp_lt_u32 s82, s66                                      // 00000000EB90: BF0A4252
	s_cselect_b32 s21, s36, s60                                // 00000000EB94: 85153C24
	s_mov_b64 exec, s[20:21]                                   // 00000000EB98: BEFE0114
	global_atomic_add_f32 v6, v125, s[8:9]                     // 00000000EB9C: DD348000 00087D06
	global_atomic_add_f32 v6, v129, s[8:9] offset:256          // 00000000EBA4: DD348100 00088106
	s_mov_b64 exec, s[36:37]                                   // 00000000EBAC: BEFE0124
	v_mov_b32_e32 v6, v76                                      // 00000000EBB0: 7E0C034C
	s_mov_b64 s[60:61], 0                                      // 00000000EBB4: BEBC0180
	v_readlane_b32 s82, v3, 24                                 // 00000000EBB8: D2890052 00013103
	s_and_b32 s82, s82, 0xffffff                               // 00000000EBC0: 8652FF52 00FFFFFF
	s_cmp_lt_u32 s82, s66                                      // 00000000EBC8: BF0A4252
	s_cselect_b32 s20, s36, s60                                // 00000000EBCC: 85143C24
	v_readlane_b32 s82, v3, 25                                 // 00000000EBD0: D2890052 00013303
	s_and_b32 s82, s82, 0xffffff                               // 00000000EBD8: 8652FF52 00FFFFFF
	s_cmp_lt_u32 s82, s66                                      // 00000000EBE0: BF0A4252
	s_cselect_b32 s21, s36, s60                                // 00000000EBE4: 85153C24
	s_mov_b64 exec, s[20:21]                                   // 00000000EBE8: BEFE0114
	global_atomic_add_f32 v6, v132, s[8:9]                     // 00000000EBEC: DD348000 00088406
	global_atomic_add_f32 v6, v136, s[8:9] offset:256          // 00000000EBF4: DD348100 00088806
	s_mov_b64 exec, s[36:37]                                   // 00000000EBFC: BEFE0124
	v_mov_b32_e32 v6, v77                                      // 00000000EC00: 7E0C034D
	s_mov_b64 s[60:61], 0                                      // 00000000EC04: BEBC0180
	v_readlane_b32 s82, v3, 26                                 // 00000000EC08: D2890052 00013503
	s_and_b32 s82, s82, 0xffffff                               // 00000000EC10: 8652FF52 00FFFFFF
	s_cmp_lt_u32 s82, s66                                      // 00000000EC18: BF0A4252
	s_cselect_b32 s20, s36, s60                                // 00000000EC1C: 85143C24
	v_readlane_b32 s82, v3, 27                                 // 00000000EC20: D2890052 00013703
	s_and_b32 s82, s82, 0xffffff                               // 00000000EC28: 8652FF52 00FFFFFF
	s_cmp_lt_u32 s82, s66                                      // 00000000EC30: BF0A4252
	s_cselect_b32 s21, s36, s60                                // 00000000EC34: 85153C24
	s_mov_b64 exec, s[20:21]                                   // 00000000EC38: BEFE0114
	global_atomic_add_f32 v6, v133, s[8:9]                     // 00000000EC3C: DD348000 00088506
	global_atomic_add_f32 v6, v137, s[8:9] offset:256          // 00000000EC44: DD348100 00088906
	s_mov_b64 exec, s[36:37]                                   // 00000000EC4C: BEFE0124
	v_mov_b32_e32 v6, v78                                      // 00000000EC50: 7E0C034E
	s_mov_b64 s[60:61], 0                                      // 00000000EC54: BEBC0180
	v_readlane_b32 s82, v3, 28                                 // 00000000EC58: D2890052 00013903
	s_and_b32 s82, s82, 0xffffff                               // 00000000EC60: 8652FF52 00FFFFFF
	s_cmp_lt_u32 s82, s66                                      // 00000000EC68: BF0A4252
	s_cselect_b32 s20, s36, s60                                // 00000000EC6C: 85143C24
	v_readlane_b32 s82, v3, 29                                 // 00000000EC70: D2890052 00013B03
	s_and_b32 s82, s82, 0xffffff                               // 00000000EC78: 8652FF52 00FFFFFF
	s_cmp_lt_u32 s82, s66                                      // 00000000EC80: BF0A4252
	s_cselect_b32 s21, s36, s60                                // 00000000EC84: 85153C24
	s_mov_b64 exec, s[20:21]                                   // 00000000EC88: BEFE0114
	global_atomic_add_f32 v6, v140, s[8:9]                     // 00000000EC8C: DD348000 00088C06
	global_atomic_add_f32 v6, v144, s[8:9] offset:256          // 00000000EC94: DD348100 00089006
	s_mov_b64 exec, s[36:37]                                   // 00000000EC9C: BEFE0124
	v_mov_b32_e32 v6, v79                                      // 00000000ECA0: 7E0C034F
	s_mov_b64 s[60:61], 0                                      // 00000000ECA4: BEBC0180
	v_readlane_b32 s82, v3, 30                                 // 00000000ECA8: D2890052 00013D03
	s_and_b32 s82, s82, 0xffffff                               // 00000000ECB0: 8652FF52 00FFFFFF
	s_cmp_lt_u32 s82, s66                                      // 00000000ECB8: BF0A4252
	s_cselect_b32 s20, s36, s60                                // 00000000ECBC: 85143C24
	v_readlane_b32 s82, v3, 31                                 // 00000000ECC0: D2890052 00013F03
	s_and_b32 s82, s82, 0xffffff                               // 00000000ECC8: 8652FF52 00FFFFFF
	s_cmp_lt_u32 s82, s66                                      // 00000000ECD0: BF0A4252
	s_cselect_b32 s21, s36, s60                                // 00000000ECD4: 85153C24
	s_mov_b64 exec, s[20:21]                                   // 00000000ECD8: BEFE0114
	global_atomic_add_f32 v6, v141, s[8:9]                     // 00000000ECDC: DD348000 00088D06
	global_atomic_add_f32 v6, v145, s[8:9] offset:256          // 00000000ECE4: DD348100 00089106
	s_mov_b64 exec, s[36:37]                                   // 00000000ECEC: BEFE0124
	v_mov_b32_e32 v6, v80                                      // 00000000ECF0: 7E0C0350
	s_mov_b64 s[60:61], 0                                      // 00000000ECF4: BEBC0180
	v_readlane_b32 s82, v3, 32                                 // 00000000ECF8: D2890052 00014103
	s_and_b32 s82, s82, 0xffffff                               // 00000000ED00: 8652FF52 00FFFFFF
	s_cmp_lt_u32 s82, s66                                      // 00000000ED08: BF0A4252
	s_cselect_b32 s20, s36, s60                                // 00000000ED0C: 85143C24
	v_readlane_b32 s82, v3, 33                                 // 00000000ED10: D2890052 00014303
	s_and_b32 s82, s82, 0xffffff                               // 00000000ED18: 8652FF52 00FFFFFF
	s_cmp_lt_u32 s82, s66                                      // 00000000ED20: BF0A4252
	s_cselect_b32 s21, s36, s60                                // 00000000ED24: 85153C24
	s_mov_b64 exec, s[20:21]                                   // 00000000ED28: BEFE0114
	global_atomic_add_f32 v6, v148, s[8:9]                     // 00000000ED2C: DD348000 00089406
	global_atomic_add_f32 v6, v152, s[8:9] offset:256          // 00000000ED34: DD348100 00089806
	s_mov_b64 exec, s[36:37]                                   // 00000000ED3C: BEFE0124
	v_mov_b32_e32 v6, v81                                      // 00000000ED40: 7E0C0351
	s_mov_b64 s[60:61], 0                                      // 00000000ED44: BEBC0180
	v_readlane_b32 s82, v3, 34                                 // 00000000ED48: D2890052 00014503
	s_and_b32 s82, s82, 0xffffff                               // 00000000ED50: 8652FF52 00FFFFFF
	s_cmp_lt_u32 s82, s66                                      // 00000000ED58: BF0A4252
	s_cselect_b32 s20, s36, s60                                // 00000000ED5C: 85143C24
	v_readlane_b32 s82, v3, 35                                 // 00000000ED60: D2890052 00014703
	s_and_b32 s82, s82, 0xffffff                               // 00000000ED68: 8652FF52 00FFFFFF
	s_cmp_lt_u32 s82, s66                                      // 00000000ED70: BF0A4252
	s_cselect_b32 s21, s36, s60                                // 00000000ED74: 85153C24
	s_mov_b64 exec, s[20:21]                                   // 00000000ED78: BEFE0114
	global_atomic_add_f32 v6, v149, s[8:9]                     // 00000000ED7C: DD348000 00089506
	global_atomic_add_f32 v6, v153, s[8:9] offset:256          // 00000000ED84: DD348100 00089906
	s_mov_b64 exec, s[36:37]                                   // 00000000ED8C: BEFE0124
	ds_write_b64 v20, v[86:87]                                 // 00000000ED90: D89A0000 00005614
	ds_write_b64 v20, v[90:91] offset:4352                     // 00000000ED98: D89A1100 00005A14
	ds_write_b64 v20, v[94:95] offset:8704                     // 00000000EDA0: D89A2200 00005E14
	ds_write_b64 v20, v[98:99] offset:13056                    // 00000000EDA8: D89A3300 00006214
	ds_write_b64 v20, v[102:103] offset:17408                  // 00000000EDB0: D89A4400 00006614
	ds_write_b64 v20, v[106:107] offset:21760                  // 00000000EDB8: D89A5500 00006A14
	ds_write_b64 v20, v[110:111] offset:26112                  // 00000000EDC0: D89A6600 00006E14
	ds_write_b64 v20, v[114:115] offset:30464                  // 00000000EDC8: D89A7700 00007214
	ds_write_b64 v20, v[118:119] offset:34816                  // 00000000EDD0: D89A8800 00007614
	ds_write_b64 v20, v[122:123] offset:2176                   // 00000000EDD8: D89A0880 00007A14
	ds_write_b64 v20, v[126:127] offset:6528                   // 00000000EDE0: D89A1980 00007E14
	ds_write_b64 v20, v[130:131] offset:10880                  // 00000000EDE8: D89A2A80 00008214
	ds_write_b64 v20, v[134:135] offset:15232                  // 00000000EDF0: D89A3B80 00008614
	ds_write_b64 v20, v[138:139] offset:19584                  // 00000000EDF8: D89A4C80 00008A14
	ds_write_b64 v20, v[142:143] offset:23936                  // 00000000EE00: D89A5D80 00008E14
	ds_write_b64 v20, v[146:147] offset:28288                  // 00000000EE08: D89A6E80 00009214
	ds_write_b64 v20, v[150:151] offset:32640                  // 00000000EE10: D89A7F80 00009614
	ds_write_b64 v20, v[154:155] offset:36992                  // 00000000EE18: D89A9080 00009A14
	s_waitcnt lgkmcnt(0)                                       // 00000000EE20: BF8CC07F
	s_barrier                                                  // 00000000EE24: BF8A0000
	ds_read_b32 v86, v21                                       // 00000000EE28: D86C0000 56000015
	ds_read_b32 v87, v21 offset:64                             // 00000000EE30: D86C0040 57000015
	ds_read_b32 v90, v21 offset:2176                           // 00000000EE38: D86C0880 5A000015
	ds_read_b32 v91, v21 offset:2240                           // 00000000EE40: D86C08C0 5B000015
	ds_read_b32 v94, v21 offset:4352                           // 00000000EE48: D86C1100 5E000015
	ds_read_b32 v95, v21 offset:4416                           // 00000000EE50: D86C1140 5F000015
	ds_read_b32 v98, v21 offset:6528                           // 00000000EE58: D86C1980 62000015
	ds_read_b32 v99, v21 offset:6592                           // 00000000EE60: D86C19C0 63000015
	ds_read_b32 v102, v21 offset:8704                          // 00000000EE68: D86C2200 66000015
	ds_read_b32 v103, v21 offset:8768                          // 00000000EE70: D86C2240 67000015
	ds_read_b32 v106, v21 offset:10880                         // 00000000EE78: D86C2A80 6A000015
	ds_read_b32 v107, v21 offset:10944                         // 00000000EE80: D86C2AC0 6B000015
	ds_read_b32 v110, v21 offset:13056                         // 00000000EE88: D86C3300 6E000015
	ds_read_b32 v111, v21 offset:13120                         // 00000000EE90: D86C3340 6F000015
	ds_read_b32 v114, v21 offset:15232                         // 00000000EE98: D86C3B80 72000015
	ds_read_b32 v115, v21 offset:15296                         // 00000000EEA0: D86C3BC0 73000015
	ds_read_b32 v118, v21 offset:17408                         // 00000000EEA8: D86C4400 76000015
	ds_read_b32 v119, v21 offset:17472                         // 00000000EEB0: D86C4440 77000015
	ds_read_b32 v122, v21 offset:19584                         // 00000000EEB8: D86C4C80 7A000015
	ds_read_b32 v123, v21 offset:19648                         // 00000000EEC0: D86C4CC0 7B000015
	ds_read_b32 v126, v21 offset:21760                         // 00000000EEC8: D86C5500 7E000015
	ds_read_b32 v127, v21 offset:21824                         // 00000000EED0: D86C5540 7F000015
	ds_read_b32 v130, v21 offset:23936                         // 00000000EED8: D86C5D80 82000015
	ds_read_b32 v131, v21 offset:24000                         // 00000000EEE0: D86C5DC0 83000015
	ds_read_b32 v134, v21 offset:26112                         // 00000000EEE8: D86C6600 86000015
	ds_read_b32 v135, v21 offset:26176                         // 00000000EEF0: D86C6640 87000015
	ds_read_b32 v138, v21 offset:28288                         // 00000000EEF8: D86C6E80 8A000015
	ds_read_b32 v139, v21 offset:28352                         // 00000000EF00: D86C6EC0 8B000015
	ds_read_b32 v142, v21 offset:30464                         // 00000000EF08: D86C7700 8E000015
	ds_read_b32 v143, v21 offset:30528                         // 00000000EF10: D86C7740 8F000015
	ds_read_b32 v146, v21 offset:32640                         // 00000000EF18: D86C7F80 92000015
	ds_read_b32 v147, v21 offset:32704                         // 00000000EF20: D86C7FC0 93000015
	ds_read_b32 v150, v21 offset:34816                         // 00000000EF28: D86C8800 96000015
	ds_read_b32 v151, v21 offset:34880                         // 00000000EF30: D86C8840 97000015
	ds_read_b32 v154, v21 offset:36992                         // 00000000EF38: D86C9080 9A000015
	ds_read_b32 v155, v21 offset:37056                         // 00000000EF40: D86C90C0 9B000015
	s_waitcnt lgkmcnt(0)                                       // 00000000EF48: BF8CC07F
	v_mov_b32_e32 v7, 0                                        // 00000000EF4C: 7E0E0280
	s_mov_b64 exec, s[36:37]                                   // 00000000EF50: BEFE0124
	v_mov_b32_e32 v6, v64                                      // 00000000EF54: 7E0C0340
	s_mov_b64 s[60:61], 0                                      // 00000000EF58: BEBC0180
	v_readlane_b32 s82, v3, 0                                  // 00000000EF5C: D2890052 00010103
	s_and_b32 s82, s82, 0xffffff                               // 00000000EF64: 8652FF52 00FFFFFF
	s_cmp_lt_u32 s82, s66                                      // 00000000EF6C: BF0A4252
	s_cselect_b32 s20, s36, s60                                // 00000000EF70: 85143C24
	v_readlane_b32 s82, v3, 1                                  // 00000000EF74: D2890052 00010303
	s_and_b32 s82, s82, 0xffffff                               // 00000000EF7C: 8652FF52 00FFFFFF
	s_cmp_lt_u32 s82, s66                                      // 00000000EF84: BF0A4252
	s_cselect_b32 s21, s36, s60                                // 00000000EF88: 85153C24
	s_mov_b64 exec, s[20:21]                                   // 00000000EF8C: BEFE0114
	global_atomic_add_f32 v6, v86, s[8:9] offset:8             // 00000000EF90: DD348008 00085606
	global_atomic_add_f32 v6, v90, s[8:9] offset:264           // 00000000EF98: DD348108 00085A06
	s_mov_b64 exec, s[36:37]                                   // 00000000EFA0: BEFE0124
	v_mov_b32_e32 v6, v65                                      // 00000000EFA4: 7E0C0341
	s_mov_b64 s[60:61], 0                                      // 00000000EFA8: BEBC0180
	v_readlane_b32 s82, v3, 2                                  // 00000000EFAC: D2890052 00010503
	s_and_b32 s82, s82, 0xffffff                               // 00000000EFB4: 8652FF52 00FFFFFF
	s_cmp_lt_u32 s82, s66                                      // 00000000EFBC: BF0A4252
	s_cselect_b32 s20, s36, s60                                // 00000000EFC0: 85143C24
	v_readlane_b32 s82, v3, 3                                  // 00000000EFC4: D2890052 00010703
	s_and_b32 s82, s82, 0xffffff                               // 00000000EFCC: 8652FF52 00FFFFFF
	s_cmp_lt_u32 s82, s66                                      // 00000000EFD4: BF0A4252
	s_cselect_b32 s21, s36, s60                                // 00000000EFD8: 85153C24
	s_mov_b64 exec, s[20:21]                                   // 00000000EFDC: BEFE0114
	global_atomic_add_f32 v6, v87, s[8:9] offset:8             // 00000000EFE0: DD348008 00085706
	global_atomic_add_f32 v6, v91, s[8:9] offset:264           // 00000000EFE8: DD348108 00085B06
	s_mov_b64 exec, s[36:37]                                   // 00000000EFF0: BEFE0124
	v_mov_b32_e32 v6, v66                                      // 00000000EFF4: 7E0C0342
	s_mov_b64 s[60:61], 0                                      // 00000000EFF8: BEBC0180
	v_readlane_b32 s82, v3, 4                                  // 00000000EFFC: D2890052 00010903
	s_and_b32 s82, s82, 0xffffff                               // 00000000F004: 8652FF52 00FFFFFF
	s_cmp_lt_u32 s82, s66                                      // 00000000F00C: BF0A4252
	s_cselect_b32 s20, s36, s60                                // 00000000F010: 85143C24
	v_readlane_b32 s82, v3, 5                                  // 00000000F014: D2890052 00010B03
	s_and_b32 s82, s82, 0xffffff                               // 00000000F01C: 8652FF52 00FFFFFF
	s_cmp_lt_u32 s82, s66                                      // 00000000F024: BF0A4252
	s_cselect_b32 s21, s36, s60                                // 00000000F028: 85153C24
	s_mov_b64 exec, s[20:21]                                   // 00000000F02C: BEFE0114
	global_atomic_add_f32 v6, v94, s[8:9] offset:8             // 00000000F030: DD348008 00085E06
	global_atomic_add_f32 v6, v98, s[8:9] offset:264           // 00000000F038: DD348108 00086206
	s_mov_b64 exec, s[36:37]                                   // 00000000F040: BEFE0124
	v_mov_b32_e32 v6, v67                                      // 00000000F044: 7E0C0343
	s_mov_b64 s[60:61], 0                                      // 00000000F048: BEBC0180
	v_readlane_b32 s82, v3, 6                                  // 00000000F04C: D2890052 00010D03
	s_and_b32 s82, s82, 0xffffff                               // 00000000F054: 8652FF52 00FFFFFF
	s_cmp_lt_u32 s82, s66                                      // 00000000F05C: BF0A4252
	s_cselect_b32 s20, s36, s60                                // 00000000F060: 85143C24
	v_readlane_b32 s82, v3, 7                                  // 00000000F064: D2890052 00010F03
	s_and_b32 s82, s82, 0xffffff                               // 00000000F06C: 8652FF52 00FFFFFF
	s_cmp_lt_u32 s82, s66                                      // 00000000F074: BF0A4252
	s_cselect_b32 s21, s36, s60                                // 00000000F078: 85153C24
	s_mov_b64 exec, s[20:21]                                   // 00000000F07C: BEFE0114
	global_atomic_add_f32 v6, v95, s[8:9] offset:8             // 00000000F080: DD348008 00085F06
	global_atomic_add_f32 v6, v99, s[8:9] offset:264           // 00000000F088: DD348108 00086306
	s_mov_b64 exec, s[36:37]                                   // 00000000F090: BEFE0124
	v_mov_b32_e32 v6, v68                                      // 00000000F094: 7E0C0344
	s_mov_b64 s[60:61], 0                                      // 00000000F098: BEBC0180
	v_readlane_b32 s82, v3, 8                                  // 00000000F09C: D2890052 00011103
	s_and_b32 s82, s82, 0xffffff                               // 00000000F0A4: 8652FF52 00FFFFFF
	s_cmp_lt_u32 s82, s66                                      // 00000000F0AC: BF0A4252
	s_cselect_b32 s20, s36, s60                                // 00000000F0B0: 85143C24
	v_readlane_b32 s82, v3, 9                                  // 00000000F0B4: D2890052 00011303
	s_and_b32 s82, s82, 0xffffff                               // 00000000F0BC: 8652FF52 00FFFFFF
	s_cmp_lt_u32 s82, s66                                      // 00000000F0C4: BF0A4252
	s_cselect_b32 s21, s36, s60                                // 00000000F0C8: 85153C24
	s_mov_b64 exec, s[20:21]                                   // 00000000F0CC: BEFE0114
	global_atomic_add_f32 v6, v102, s[8:9] offset:8            // 00000000F0D0: DD348008 00086606
	global_atomic_add_f32 v6, v106, s[8:9] offset:264          // 00000000F0D8: DD348108 00086A06
	s_mov_b64 exec, s[36:37]                                   // 00000000F0E0: BEFE0124
	v_mov_b32_e32 v6, v69                                      // 00000000F0E4: 7E0C0345
	s_mov_b64 s[60:61], 0                                      // 00000000F0E8: BEBC0180
	v_readlane_b32 s82, v3, 10                                 // 00000000F0EC: D2890052 00011503
	s_and_b32 s82, s82, 0xffffff                               // 00000000F0F4: 8652FF52 00FFFFFF
	s_cmp_lt_u32 s82, s66                                      // 00000000F0FC: BF0A4252
	s_cselect_b32 s20, s36, s60                                // 00000000F100: 85143C24
	v_readlane_b32 s82, v3, 11                                 // 00000000F104: D2890052 00011703
	s_and_b32 s82, s82, 0xffffff                               // 00000000F10C: 8652FF52 00FFFFFF
	s_cmp_lt_u32 s82, s66                                      // 00000000F114: BF0A4252
	s_cselect_b32 s21, s36, s60                                // 00000000F118: 85153C24
	s_mov_b64 exec, s[20:21]                                   // 00000000F11C: BEFE0114
	global_atomic_add_f32 v6, v103, s[8:9] offset:8            // 00000000F120: DD348008 00086706
	global_atomic_add_f32 v6, v107, s[8:9] offset:264          // 00000000F128: DD348108 00086B06
	s_mov_b64 exec, s[36:37]                                   // 00000000F130: BEFE0124
	v_mov_b32_e32 v6, v70                                      // 00000000F134: 7E0C0346
	s_mov_b64 s[60:61], 0                                      // 00000000F138: BEBC0180
	v_readlane_b32 s82, v3, 12                                 // 00000000F13C: D2890052 00011903
	s_and_b32 s82, s82, 0xffffff                               // 00000000F144: 8652FF52 00FFFFFF
	s_cmp_lt_u32 s82, s66                                      // 00000000F14C: BF0A4252
	s_cselect_b32 s20, s36, s60                                // 00000000F150: 85143C24
	v_readlane_b32 s82, v3, 13                                 // 00000000F154: D2890052 00011B03
	s_and_b32 s82, s82, 0xffffff                               // 00000000F15C: 8652FF52 00FFFFFF
	s_cmp_lt_u32 s82, s66                                      // 00000000F164: BF0A4252
	s_cselect_b32 s21, s36, s60                                // 00000000F168: 85153C24
	s_mov_b64 exec, s[20:21]                                   // 00000000F16C: BEFE0114
	global_atomic_add_f32 v6, v110, s[8:9] offset:8            // 00000000F170: DD348008 00086E06
	global_atomic_add_f32 v6, v114, s[8:9] offset:264          // 00000000F178: DD348108 00087206
	s_mov_b64 exec, s[36:37]                                   // 00000000F180: BEFE0124
	v_mov_b32_e32 v6, v71                                      // 00000000F184: 7E0C0347
	s_mov_b64 s[60:61], 0                                      // 00000000F188: BEBC0180
	v_readlane_b32 s82, v3, 14                                 // 00000000F18C: D2890052 00011D03
	s_and_b32 s82, s82, 0xffffff                               // 00000000F194: 8652FF52 00FFFFFF
	s_cmp_lt_u32 s82, s66                                      // 00000000F19C: BF0A4252
	s_cselect_b32 s20, s36, s60                                // 00000000F1A0: 85143C24
	v_readlane_b32 s82, v3, 15                                 // 00000000F1A4: D2890052 00011F03
	s_and_b32 s82, s82, 0xffffff                               // 00000000F1AC: 8652FF52 00FFFFFF
	s_cmp_lt_u32 s82, s66                                      // 00000000F1B4: BF0A4252
	s_cselect_b32 s21, s36, s60                                // 00000000F1B8: 85153C24
	s_mov_b64 exec, s[20:21]                                   // 00000000F1BC: BEFE0114
	global_atomic_add_f32 v6, v111, s[8:9] offset:8            // 00000000F1C0: DD348008 00086F06
	global_atomic_add_f32 v6, v115, s[8:9] offset:264          // 00000000F1C8: DD348108 00087306
	s_mov_b64 exec, s[36:37]                                   // 00000000F1D0: BEFE0124
	v_mov_b32_e32 v6, v72                                      // 00000000F1D4: 7E0C0348
	s_mov_b64 s[60:61], 0                                      // 00000000F1D8: BEBC0180
	v_readlane_b32 s82, v3, 16                                 // 00000000F1DC: D2890052 00012103
	s_and_b32 s82, s82, 0xffffff                               // 00000000F1E4: 8652FF52 00FFFFFF
	s_cmp_lt_u32 s82, s66                                      // 00000000F1EC: BF0A4252
	s_cselect_b32 s20, s36, s60                                // 00000000F1F0: 85143C24
	v_readlane_b32 s82, v3, 17                                 // 00000000F1F4: D2890052 00012303
	s_and_b32 s82, s82, 0xffffff                               // 00000000F1FC: 8652FF52 00FFFFFF
	s_cmp_lt_u32 s82, s66                                      // 00000000F204: BF0A4252
	s_cselect_b32 s21, s36, s60                                // 00000000F208: 85153C24
	s_mov_b64 exec, s[20:21]                                   // 00000000F20C: BEFE0114
	global_atomic_add_f32 v6, v118, s[8:9] offset:8            // 00000000F210: DD348008 00087606
	global_atomic_add_f32 v6, v122, s[8:9] offset:264          // 00000000F218: DD348108 00087A06
	s_mov_b64 exec, s[36:37]                                   // 00000000F220: BEFE0124
	v_mov_b32_e32 v6, v73                                      // 00000000F224: 7E0C0349
	s_mov_b64 s[60:61], 0                                      // 00000000F228: BEBC0180
	v_readlane_b32 s82, v3, 18                                 // 00000000F22C: D2890052 00012503
	s_and_b32 s82, s82, 0xffffff                               // 00000000F234: 8652FF52 00FFFFFF
	s_cmp_lt_u32 s82, s66                                      // 00000000F23C: BF0A4252
	s_cselect_b32 s20, s36, s60                                // 00000000F240: 85143C24
	v_readlane_b32 s82, v3, 19                                 // 00000000F244: D2890052 00012703
	s_and_b32 s82, s82, 0xffffff                               // 00000000F24C: 8652FF52 00FFFFFF
	s_cmp_lt_u32 s82, s66                                      // 00000000F254: BF0A4252
	s_cselect_b32 s21, s36, s60                                // 00000000F258: 85153C24
	s_mov_b64 exec, s[20:21]                                   // 00000000F25C: BEFE0114
	global_atomic_add_f32 v6, v119, s[8:9] offset:8            // 00000000F260: DD348008 00087706
	global_atomic_add_f32 v6, v123, s[8:9] offset:264          // 00000000F268: DD348108 00087B06
	s_mov_b64 exec, s[36:37]                                   // 00000000F270: BEFE0124
	v_mov_b32_e32 v6, v74                                      // 00000000F274: 7E0C034A
	s_mov_b64 s[60:61], 0                                      // 00000000F278: BEBC0180
	v_readlane_b32 s82, v3, 20                                 // 00000000F27C: D2890052 00012903
	s_and_b32 s82, s82, 0xffffff                               // 00000000F284: 8652FF52 00FFFFFF
	s_cmp_lt_u32 s82, s66                                      // 00000000F28C: BF0A4252
	s_cselect_b32 s20, s36, s60                                // 00000000F290: 85143C24
	v_readlane_b32 s82, v3, 21                                 // 00000000F294: D2890052 00012B03
	s_and_b32 s82, s82, 0xffffff                               // 00000000F29C: 8652FF52 00FFFFFF
	s_cmp_lt_u32 s82, s66                                      // 00000000F2A4: BF0A4252
	s_cselect_b32 s21, s36, s60                                // 00000000F2A8: 85153C24
	s_mov_b64 exec, s[20:21]                                   // 00000000F2AC: BEFE0114
	global_atomic_add_f32 v6, v126, s[8:9] offset:8            // 00000000F2B0: DD348008 00087E06
	global_atomic_add_f32 v6, v130, s[8:9] offset:264          // 00000000F2B8: DD348108 00088206
	s_mov_b64 exec, s[36:37]                                   // 00000000F2C0: BEFE0124
	v_mov_b32_e32 v6, v75                                      // 00000000F2C4: 7E0C034B
	s_mov_b64 s[60:61], 0                                      // 00000000F2C8: BEBC0180
	v_readlane_b32 s82, v3, 22                                 // 00000000F2CC: D2890052 00012D03
	s_and_b32 s82, s82, 0xffffff                               // 00000000F2D4: 8652FF52 00FFFFFF
	s_cmp_lt_u32 s82, s66                                      // 00000000F2DC: BF0A4252
	s_cselect_b32 s20, s36, s60                                // 00000000F2E0: 85143C24
	v_readlane_b32 s82, v3, 23                                 // 00000000F2E4: D2890052 00012F03
	s_and_b32 s82, s82, 0xffffff                               // 00000000F2EC: 8652FF52 00FFFFFF
	s_cmp_lt_u32 s82, s66                                      // 00000000F2F4: BF0A4252
	s_cselect_b32 s21, s36, s60                                // 00000000F2F8: 85153C24
	s_mov_b64 exec, s[20:21]                                   // 00000000F2FC: BEFE0114
	global_atomic_add_f32 v6, v127, s[8:9] offset:8            // 00000000F300: DD348008 00087F06
	global_atomic_add_f32 v6, v131, s[8:9] offset:264          // 00000000F308: DD348108 00088306
	s_mov_b64 exec, s[36:37]                                   // 00000000F310: BEFE0124
	v_mov_b32_e32 v6, v76                                      // 00000000F314: 7E0C034C
	s_mov_b64 s[60:61], 0                                      // 00000000F318: BEBC0180
	v_readlane_b32 s82, v3, 24                                 // 00000000F31C: D2890052 00013103
	s_and_b32 s82, s82, 0xffffff                               // 00000000F324: 8652FF52 00FFFFFF
	s_cmp_lt_u32 s82, s66                                      // 00000000F32C: BF0A4252
	s_cselect_b32 s20, s36, s60                                // 00000000F330: 85143C24
	v_readlane_b32 s82, v3, 25                                 // 00000000F334: D2890052 00013303
	s_and_b32 s82, s82, 0xffffff                               // 00000000F33C: 8652FF52 00FFFFFF
	s_cmp_lt_u32 s82, s66                                      // 00000000F344: BF0A4252
	s_cselect_b32 s21, s36, s60                                // 00000000F348: 85153C24
	s_mov_b64 exec, s[20:21]                                   // 00000000F34C: BEFE0114
	global_atomic_add_f32 v6, v134, s[8:9] offset:8            // 00000000F350: DD348008 00088606
	global_atomic_add_f32 v6, v138, s[8:9] offset:264          // 00000000F358: DD348108 00088A06
	s_mov_b64 exec, s[36:37]                                   // 00000000F360: BEFE0124
	v_mov_b32_e32 v6, v77                                      // 00000000F364: 7E0C034D
	s_mov_b64 s[60:61], 0                                      // 00000000F368: BEBC0180
	v_readlane_b32 s82, v3, 26                                 // 00000000F36C: D2890052 00013503
	s_and_b32 s82, s82, 0xffffff                               // 00000000F374: 8652FF52 00FFFFFF
	s_cmp_lt_u32 s82, s66                                      // 00000000F37C: BF0A4252
	s_cselect_b32 s20, s36, s60                                // 00000000F380: 85143C24
	v_readlane_b32 s82, v3, 27                                 // 00000000F384: D2890052 00013703
	s_and_b32 s82, s82, 0xffffff                               // 00000000F38C: 8652FF52 00FFFFFF
	s_cmp_lt_u32 s82, s66                                      // 00000000F394: BF0A4252
	s_cselect_b32 s21, s36, s60                                // 00000000F398: 85153C24
	s_mov_b64 exec, s[20:21]                                   // 00000000F39C: BEFE0114
	global_atomic_add_f32 v6, v135, s[8:9] offset:8            // 00000000F3A0: DD348008 00088706
	global_atomic_add_f32 v6, v139, s[8:9] offset:264          // 00000000F3A8: DD348108 00088B06
	s_mov_b64 exec, s[36:37]                                   // 00000000F3B0: BEFE0124
	v_mov_b32_e32 v6, v78                                      // 00000000F3B4: 7E0C034E
	s_mov_b64 s[60:61], 0                                      // 00000000F3B8: BEBC0180
	v_readlane_b32 s82, v3, 28                                 // 00000000F3BC: D2890052 00013903
	s_and_b32 s82, s82, 0xffffff                               // 00000000F3C4: 8652FF52 00FFFFFF
	s_cmp_lt_u32 s82, s66                                      // 00000000F3CC: BF0A4252
	s_cselect_b32 s20, s36, s60                                // 00000000F3D0: 85143C24
	v_readlane_b32 s82, v3, 29                                 // 00000000F3D4: D2890052 00013B03
	s_and_b32 s82, s82, 0xffffff                               // 00000000F3DC: 8652FF52 00FFFFFF
	s_cmp_lt_u32 s82, s66                                      // 00000000F3E4: BF0A4252
	s_cselect_b32 s21, s36, s60                                // 00000000F3E8: 85153C24
	s_mov_b64 exec, s[20:21]                                   // 00000000F3EC: BEFE0114
	global_atomic_add_f32 v6, v142, s[8:9] offset:8            // 00000000F3F0: DD348008 00088E06
	global_atomic_add_f32 v6, v146, s[8:9] offset:264          // 00000000F3F8: DD348108 00089206
	s_mov_b64 exec, s[36:37]                                   // 00000000F400: BEFE0124
	v_mov_b32_e32 v6, v79                                      // 00000000F404: 7E0C034F
	s_mov_b64 s[60:61], 0                                      // 00000000F408: BEBC0180
	v_readlane_b32 s82, v3, 30                                 // 00000000F40C: D2890052 00013D03
	s_and_b32 s82, s82, 0xffffff                               // 00000000F414: 8652FF52 00FFFFFF
	s_cmp_lt_u32 s82, s66                                      // 00000000F41C: BF0A4252
	s_cselect_b32 s20, s36, s60                                // 00000000F420: 85143C24
	v_readlane_b32 s82, v3, 31                                 // 00000000F424: D2890052 00013F03
	s_and_b32 s82, s82, 0xffffff                               // 00000000F42C: 8652FF52 00FFFFFF
	s_cmp_lt_u32 s82, s66                                      // 00000000F434: BF0A4252
	s_cselect_b32 s21, s36, s60                                // 00000000F438: 85153C24
	s_mov_b64 exec, s[20:21]                                   // 00000000F43C: BEFE0114
	global_atomic_add_f32 v6, v143, s[8:9] offset:8            // 00000000F440: DD348008 00088F06
	global_atomic_add_f32 v6, v147, s[8:9] offset:264          // 00000000F448: DD348108 00089306
	s_mov_b64 exec, s[36:37]                                   // 00000000F450: BEFE0124
	v_mov_b32_e32 v6, v80                                      // 00000000F454: 7E0C0350
	s_mov_b64 s[60:61], 0                                      // 00000000F458: BEBC0180
	v_readlane_b32 s82, v3, 32                                 // 00000000F45C: D2890052 00014103
	s_and_b32 s82, s82, 0xffffff                               // 00000000F464: 8652FF52 00FFFFFF
	s_cmp_lt_u32 s82, s66                                      // 00000000F46C: BF0A4252
	s_cselect_b32 s20, s36, s60                                // 00000000F470: 85143C24
	v_readlane_b32 s82, v3, 33                                 // 00000000F474: D2890052 00014303
	s_and_b32 s82, s82, 0xffffff                               // 00000000F47C: 8652FF52 00FFFFFF
	s_cmp_lt_u32 s82, s66                                      // 00000000F484: BF0A4252
	s_cselect_b32 s21, s36, s60                                // 00000000F488: 85153C24
	s_mov_b64 exec, s[20:21]                                   // 00000000F48C: BEFE0114
	global_atomic_add_f32 v6, v150, s[8:9] offset:8            // 00000000F490: DD348008 00089606
	global_atomic_add_f32 v6, v154, s[8:9] offset:264          // 00000000F498: DD348108 00089A06
	s_mov_b64 exec, s[36:37]                                   // 00000000F4A0: BEFE0124
	v_mov_b32_e32 v6, v81                                      // 00000000F4A4: 7E0C0351
	s_mov_b64 s[60:61], 0                                      // 00000000F4A8: BEBC0180
	v_readlane_b32 s82, v3, 34                                 // 00000000F4AC: D2890052 00014503
	s_and_b32 s82, s82, 0xffffff                               // 00000000F4B4: 8652FF52 00FFFFFF
	s_cmp_lt_u32 s82, s66                                      // 00000000F4BC: BF0A4252
	s_cselect_b32 s20, s36, s60                                // 00000000F4C0: 85143C24
	v_readlane_b32 s82, v3, 35                                 // 00000000F4C4: D2890052 00014703
	s_and_b32 s82, s82, 0xffffff                               // 00000000F4CC: 8652FF52 00FFFFFF
	s_cmp_lt_u32 s82, s66                                      // 00000000F4D4: BF0A4252
	s_cselect_b32 s21, s36, s60                                // 00000000F4D8: 85153C24
	s_mov_b64 exec, s[20:21]                                   // 00000000F4DC: BEFE0114
	global_atomic_add_f32 v6, v151, s[8:9] offset:8            // 00000000F4E0: DD348008 00089706
	global_atomic_add_f32 v6, v155, s[8:9] offset:264          // 00000000F4E8: DD348108 00089B06
	s_mov_b64 exec, s[36:37]                                   // 00000000F4F0: BEFE0124
	ds_write_b64 v20, v[156:157]                               // 00000000F4F4: D89A0000 00009C14
	ds_write_b64 v20, v[160:161] offset:4352                   // 00000000F4FC: D89A1100 0000A014
	ds_write_b64 v20, v[164:165] offset:8704                   // 00000000F504: D89A2200 0000A414
	ds_write_b64 v20, v[168:169] offset:13056                  // 00000000F50C: D89A3300 0000A814
	ds_write_b64 v20, v[172:173] offset:17408                  // 00000000F514: D89A4400 0000AC14
	ds_write_b64 v20, v[176:177] offset:21760                  // 00000000F51C: D89A5500 0000B014
	ds_write_b64 v20, v[180:181] offset:26112                  // 00000000F524: D89A6600 0000B414
	ds_write_b64 v20, v[184:185] offset:30464                  // 00000000F52C: D89A7700 0000B814
	ds_write_b64 v20, v[188:189] offset:34816                  // 00000000F534: D89A8800 0000BC14
	ds_write_b64 v20, v[192:193] offset:2176                   // 00000000F53C: D89A0880 0000C014
	ds_write_b64 v20, v[196:197] offset:6528                   // 00000000F544: D89A1980 0000C414
	ds_write_b64 v20, v[200:201] offset:10880                  // 00000000F54C: D89A2A80 0000C814
	ds_write_b64 v20, v[204:205] offset:15232                  // 00000000F554: D89A3B80 0000CC14
	ds_write_b64 v20, v[208:209] offset:19584                  // 00000000F55C: D89A4C80 0000D014
	ds_write_b64 v20, v[212:213] offset:23936                  // 00000000F564: D89A5D80 0000D414
	ds_write_b64 v20, v[216:217] offset:28288                  // 00000000F56C: D89A6E80 0000D814
	ds_write_b64 v20, v[220:221] offset:32640                  // 00000000F574: D89A7F80 0000DC14
	ds_write_b64 v20, v[224:225] offset:36992                  // 00000000F57C: D89A9080 0000E014
	s_waitcnt lgkmcnt(0)                                       // 00000000F584: BF8CC07F
	s_barrier                                                  // 00000000F588: BF8A0000
	ds_read_b32 v156, v21                                      // 00000000F58C: D86C0000 9C000015
	ds_read_b32 v157, v21 offset:64                            // 00000000F594: D86C0040 9D000015
	ds_read_b32 v160, v21 offset:2176                          // 00000000F59C: D86C0880 A0000015
	ds_read_b32 v161, v21 offset:2240                          // 00000000F5A4: D86C08C0 A1000015
	ds_read_b32 v164, v21 offset:4352                          // 00000000F5AC: D86C1100 A4000015
	ds_read_b32 v165, v21 offset:4416                          // 00000000F5B4: D86C1140 A5000015
	ds_read_b32 v168, v21 offset:6528                          // 00000000F5BC: D86C1980 A8000015
	ds_read_b32 v169, v21 offset:6592                          // 00000000F5C4: D86C19C0 A9000015
	ds_read_b32 v172, v21 offset:8704                          // 00000000F5CC: D86C2200 AC000015
	ds_read_b32 v173, v21 offset:8768                          // 00000000F5D4: D86C2240 AD000015
	ds_read_b32 v176, v21 offset:10880                         // 00000000F5DC: D86C2A80 B0000015
	ds_read_b32 v177, v21 offset:10944                         // 00000000F5E4: D86C2AC0 B1000015
	ds_read_b32 v180, v21 offset:13056                         // 00000000F5EC: D86C3300 B4000015
	ds_read_b32 v181, v21 offset:13120                         // 00000000F5F4: D86C3340 B5000015
	ds_read_b32 v184, v21 offset:15232                         // 00000000F5FC: D86C3B80 B8000015
	ds_read_b32 v185, v21 offset:15296                         // 00000000F604: D86C3BC0 B9000015
	ds_read_b32 v188, v21 offset:17408                         // 00000000F60C: D86C4400 BC000015
	ds_read_b32 v189, v21 offset:17472                         // 00000000F614: D86C4440 BD000015
	ds_read_b32 v192, v21 offset:19584                         // 00000000F61C: D86C4C80 C0000015
	ds_read_b32 v193, v21 offset:19648                         // 00000000F624: D86C4CC0 C1000015
	ds_read_b32 v196, v21 offset:21760                         // 00000000F62C: D86C5500 C4000015
	ds_read_b32 v197, v21 offset:21824                         // 00000000F634: D86C5540 C5000015
	ds_read_b32 v200, v21 offset:23936                         // 00000000F63C: D86C5D80 C8000015
	ds_read_b32 v201, v21 offset:24000                         // 00000000F644: D86C5DC0 C9000015
	ds_read_b32 v204, v21 offset:26112                         // 00000000F64C: D86C6600 CC000015
	ds_read_b32 v205, v21 offset:26176                         // 00000000F654: D86C6640 CD000015
	ds_read_b32 v208, v21 offset:28288                         // 00000000F65C: D86C6E80 D0000015
	ds_read_b32 v209, v21 offset:28352                         // 00000000F664: D86C6EC0 D1000015
	ds_read_b32 v212, v21 offset:30464                         // 00000000F66C: D86C7700 D4000015
	ds_read_b32 v213, v21 offset:30528                         // 00000000F674: D86C7740 D5000015
	ds_read_b32 v216, v21 offset:32640                         // 00000000F67C: D86C7F80 D8000015
	ds_read_b32 v217, v21 offset:32704                         // 00000000F684: D86C7FC0 D9000015
	ds_read_b32 v220, v21 offset:34816                         // 00000000F68C: D86C8800 DC000015
	ds_read_b32 v221, v21 offset:34880                         // 00000000F694: D86C8840 DD000015
	ds_read_b32 v224, v21 offset:36992                         // 00000000F69C: D86C9080 E0000015
	ds_read_b32 v225, v21 offset:37056                         // 00000000F6A4: D86C90C0 E1000015
	s_mul_i32 s60, s65, 4                                      // 00000000F6AC: 923C8441
	s_add_u32 s8, s60, s8                                      // 00000000F6B0: 8008083C
	s_addc_u32 s9, 0, s9                                       // 00000000F6B4: 82090980
	s_waitcnt lgkmcnt(0)                                       // 00000000F6B8: BF8CC07F
	v_mov_b32_e32 v7, 0                                        // 00000000F6BC: 7E0E0280
	s_mov_b64 exec, s[36:37]                                   // 00000000F6C0: BEFE0124
	v_mov_b32_e32 v6, v64                                      // 00000000F6C4: 7E0C0340
	s_mov_b64 s[60:61], 0                                      // 00000000F6C8: BEBC0180
	v_readlane_b32 s82, v3, 0                                  // 00000000F6CC: D2890052 00010103
	s_and_b32 s82, s82, 0xffffff                               // 00000000F6D4: 8652FF52 00FFFFFF
	s_cmp_lt_u32 s82, s66                                      // 00000000F6DC: BF0A4252
	s_cselect_b32 s20, s36, s60                                // 00000000F6E0: 85143C24
	v_readlane_b32 s82, v3, 1                                  // 00000000F6E4: D2890052 00010303
	s_and_b32 s82, s82, 0xffffff                               // 00000000F6EC: 8652FF52 00FFFFFF
	s_cmp_lt_u32 s82, s66                                      // 00000000F6F4: BF0A4252
	s_cselect_b32 s21, s36, s60                                // 00000000F6F8: 85153C24
	s_mov_b64 exec, s[20:21]                                   // 00000000F6FC: BEFE0114
	global_atomic_add_f32 v6, v156, s[8:9]                     // 00000000F700: DD348000 00089C06
	global_atomic_add_f32 v6, v160, s[8:9] offset:256          // 00000000F708: DD348100 0008A006
	s_mov_b64 exec, s[36:37]                                   // 00000000F710: BEFE0124
	v_mov_b32_e32 v6, v65                                      // 00000000F714: 7E0C0341
	s_mov_b64 s[60:61], 0                                      // 00000000F718: BEBC0180
	v_readlane_b32 s82, v3, 2                                  // 00000000F71C: D2890052 00010503
	s_and_b32 s82, s82, 0xffffff                               // 00000000F724: 8652FF52 00FFFFFF
	s_cmp_lt_u32 s82, s66                                      // 00000000F72C: BF0A4252
	s_cselect_b32 s20, s36, s60                                // 00000000F730: 85143C24
	v_readlane_b32 s82, v3, 3                                  // 00000000F734: D2890052 00010703
	s_and_b32 s82, s82, 0xffffff                               // 00000000F73C: 8652FF52 00FFFFFF
	s_cmp_lt_u32 s82, s66                                      // 00000000F744: BF0A4252
	s_cselect_b32 s21, s36, s60                                // 00000000F748: 85153C24
	s_mov_b64 exec, s[20:21]                                   // 00000000F74C: BEFE0114
	global_atomic_add_f32 v6, v157, s[8:9]                     // 00000000F750: DD348000 00089D06
	global_atomic_add_f32 v6, v161, s[8:9] offset:256          // 00000000F758: DD348100 0008A106
	s_mov_b64 exec, s[36:37]                                   // 00000000F760: BEFE0124
	v_mov_b32_e32 v6, v66                                      // 00000000F764: 7E0C0342
	s_mov_b64 s[60:61], 0                                      // 00000000F768: BEBC0180
	v_readlane_b32 s82, v3, 4                                  // 00000000F76C: D2890052 00010903
	s_and_b32 s82, s82, 0xffffff                               // 00000000F774: 8652FF52 00FFFFFF
	s_cmp_lt_u32 s82, s66                                      // 00000000F77C: BF0A4252
	s_cselect_b32 s20, s36, s60                                // 00000000F780: 85143C24
	v_readlane_b32 s82, v3, 5                                  // 00000000F784: D2890052 00010B03
	s_and_b32 s82, s82, 0xffffff                               // 00000000F78C: 8652FF52 00FFFFFF
	s_cmp_lt_u32 s82, s66                                      // 00000000F794: BF0A4252
	s_cselect_b32 s21, s36, s60                                // 00000000F798: 85153C24
	s_mov_b64 exec, s[20:21]                                   // 00000000F79C: BEFE0114
	global_atomic_add_f32 v6, v164, s[8:9]                     // 00000000F7A0: DD348000 0008A406
	global_atomic_add_f32 v6, v168, s[8:9] offset:256          // 00000000F7A8: DD348100 0008A806
	s_mov_b64 exec, s[36:37]                                   // 00000000F7B0: BEFE0124
	v_mov_b32_e32 v6, v67                                      // 00000000F7B4: 7E0C0343
	s_mov_b64 s[60:61], 0                                      // 00000000F7B8: BEBC0180
	v_readlane_b32 s82, v3, 6                                  // 00000000F7BC: D2890052 00010D03
	s_and_b32 s82, s82, 0xffffff                               // 00000000F7C4: 8652FF52 00FFFFFF
	s_cmp_lt_u32 s82, s66                                      // 00000000F7CC: BF0A4252
	s_cselect_b32 s20, s36, s60                                // 00000000F7D0: 85143C24
	v_readlane_b32 s82, v3, 7                                  // 00000000F7D4: D2890052 00010F03
	s_and_b32 s82, s82, 0xffffff                               // 00000000F7DC: 8652FF52 00FFFFFF
	s_cmp_lt_u32 s82, s66                                      // 00000000F7E4: BF0A4252
	s_cselect_b32 s21, s36, s60                                // 00000000F7E8: 85153C24
	s_mov_b64 exec, s[20:21]                                   // 00000000F7EC: BEFE0114
	global_atomic_add_f32 v6, v165, s[8:9]                     // 00000000F7F0: DD348000 0008A506
	global_atomic_add_f32 v6, v169, s[8:9] offset:256          // 00000000F7F8: DD348100 0008A906
	s_mov_b64 exec, s[36:37]                                   // 00000000F800: BEFE0124
	v_mov_b32_e32 v6, v68                                      // 00000000F804: 7E0C0344
	s_mov_b64 s[60:61], 0                                      // 00000000F808: BEBC0180
	v_readlane_b32 s82, v3, 8                                  // 00000000F80C: D2890052 00011103
	s_and_b32 s82, s82, 0xffffff                               // 00000000F814: 8652FF52 00FFFFFF
	s_cmp_lt_u32 s82, s66                                      // 00000000F81C: BF0A4252
	s_cselect_b32 s20, s36, s60                                // 00000000F820: 85143C24
	v_readlane_b32 s82, v3, 9                                  // 00000000F824: D2890052 00011303
	s_and_b32 s82, s82, 0xffffff                               // 00000000F82C: 8652FF52 00FFFFFF
	s_cmp_lt_u32 s82, s66                                      // 00000000F834: BF0A4252
	s_cselect_b32 s21, s36, s60                                // 00000000F838: 85153C24
	s_mov_b64 exec, s[20:21]                                   // 00000000F83C: BEFE0114
	global_atomic_add_f32 v6, v172, s[8:9]                     // 00000000F840: DD348000 0008AC06
	global_atomic_add_f32 v6, v176, s[8:9] offset:256          // 00000000F848: DD348100 0008B006
	s_mov_b64 exec, s[36:37]                                   // 00000000F850: BEFE0124
	v_mov_b32_e32 v6, v69                                      // 00000000F854: 7E0C0345
	s_mov_b64 s[60:61], 0                                      // 00000000F858: BEBC0180
	v_readlane_b32 s82, v3, 10                                 // 00000000F85C: D2890052 00011503
	s_and_b32 s82, s82, 0xffffff                               // 00000000F864: 8652FF52 00FFFFFF
	s_cmp_lt_u32 s82, s66                                      // 00000000F86C: BF0A4252
	s_cselect_b32 s20, s36, s60                                // 00000000F870: 85143C24
	v_readlane_b32 s82, v3, 11                                 // 00000000F874: D2890052 00011703
	s_and_b32 s82, s82, 0xffffff                               // 00000000F87C: 8652FF52 00FFFFFF
	s_cmp_lt_u32 s82, s66                                      // 00000000F884: BF0A4252
	s_cselect_b32 s21, s36, s60                                // 00000000F888: 85153C24
	s_mov_b64 exec, s[20:21]                                   // 00000000F88C: BEFE0114
	global_atomic_add_f32 v6, v173, s[8:9]                     // 00000000F890: DD348000 0008AD06
	global_atomic_add_f32 v6, v177, s[8:9] offset:256          // 00000000F898: DD348100 0008B106
	s_mov_b64 exec, s[36:37]                                   // 00000000F8A0: BEFE0124
	v_mov_b32_e32 v6, v70                                      // 00000000F8A4: 7E0C0346
	s_mov_b64 s[60:61], 0                                      // 00000000F8A8: BEBC0180
	v_readlane_b32 s82, v3, 12                                 // 00000000F8AC: D2890052 00011903
	s_and_b32 s82, s82, 0xffffff                               // 00000000F8B4: 8652FF52 00FFFFFF
	s_cmp_lt_u32 s82, s66                                      // 00000000F8BC: BF0A4252
	s_cselect_b32 s20, s36, s60                                // 00000000F8C0: 85143C24
	v_readlane_b32 s82, v3, 13                                 // 00000000F8C4: D2890052 00011B03
	s_and_b32 s82, s82, 0xffffff                               // 00000000F8CC: 8652FF52 00FFFFFF
	s_cmp_lt_u32 s82, s66                                      // 00000000F8D4: BF0A4252
	s_cselect_b32 s21, s36, s60                                // 00000000F8D8: 85153C24
	s_mov_b64 exec, s[20:21]                                   // 00000000F8DC: BEFE0114
	global_atomic_add_f32 v6, v180, s[8:9]                     // 00000000F8E0: DD348000 0008B406
	global_atomic_add_f32 v6, v184, s[8:9] offset:256          // 00000000F8E8: DD348100 0008B806
	s_mov_b64 exec, s[36:37]                                   // 00000000F8F0: BEFE0124
	v_mov_b32_e32 v6, v71                                      // 00000000F8F4: 7E0C0347
	s_mov_b64 s[60:61], 0                                      // 00000000F8F8: BEBC0180
	v_readlane_b32 s82, v3, 14                                 // 00000000F8FC: D2890052 00011D03
	s_and_b32 s82, s82, 0xffffff                               // 00000000F904: 8652FF52 00FFFFFF
	s_cmp_lt_u32 s82, s66                                      // 00000000F90C: BF0A4252
	s_cselect_b32 s20, s36, s60                                // 00000000F910: 85143C24
	v_readlane_b32 s82, v3, 15                                 // 00000000F914: D2890052 00011F03
	s_and_b32 s82, s82, 0xffffff                               // 00000000F91C: 8652FF52 00FFFFFF
	s_cmp_lt_u32 s82, s66                                      // 00000000F924: BF0A4252
	s_cselect_b32 s21, s36, s60                                // 00000000F928: 85153C24
	s_mov_b64 exec, s[20:21]                                   // 00000000F92C: BEFE0114
	global_atomic_add_f32 v6, v181, s[8:9]                     // 00000000F930: DD348000 0008B506
	global_atomic_add_f32 v6, v185, s[8:9] offset:256          // 00000000F938: DD348100 0008B906
	s_mov_b64 exec, s[36:37]                                   // 00000000F940: BEFE0124
	v_mov_b32_e32 v6, v72                                      // 00000000F944: 7E0C0348
	s_mov_b64 s[60:61], 0                                      // 00000000F948: BEBC0180
	v_readlane_b32 s82, v3, 16                                 // 00000000F94C: D2890052 00012103
	s_and_b32 s82, s82, 0xffffff                               // 00000000F954: 8652FF52 00FFFFFF
	s_cmp_lt_u32 s82, s66                                      // 00000000F95C: BF0A4252
	s_cselect_b32 s20, s36, s60                                // 00000000F960: 85143C24
	v_readlane_b32 s82, v3, 17                                 // 00000000F964: D2890052 00012303
	s_and_b32 s82, s82, 0xffffff                               // 00000000F96C: 8652FF52 00FFFFFF
	s_cmp_lt_u32 s82, s66                                      // 00000000F974: BF0A4252
	s_cselect_b32 s21, s36, s60                                // 00000000F978: 85153C24
	s_mov_b64 exec, s[20:21]                                   // 00000000F97C: BEFE0114
	global_atomic_add_f32 v6, v188, s[8:9]                     // 00000000F980: DD348000 0008BC06
	global_atomic_add_f32 v6, v192, s[8:9] offset:256          // 00000000F988: DD348100 0008C006
	s_mov_b64 exec, s[36:37]                                   // 00000000F990: BEFE0124
	v_mov_b32_e32 v6, v73                                      // 00000000F994: 7E0C0349
	s_mov_b64 s[60:61], 0                                      // 00000000F998: BEBC0180
	v_readlane_b32 s82, v3, 18                                 // 00000000F99C: D2890052 00012503
	s_and_b32 s82, s82, 0xffffff                               // 00000000F9A4: 8652FF52 00FFFFFF
	s_cmp_lt_u32 s82, s66                                      // 00000000F9AC: BF0A4252
	s_cselect_b32 s20, s36, s60                                // 00000000F9B0: 85143C24
	v_readlane_b32 s82, v3, 19                                 // 00000000F9B4: D2890052 00012703
	s_and_b32 s82, s82, 0xffffff                               // 00000000F9BC: 8652FF52 00FFFFFF
	s_cmp_lt_u32 s82, s66                                      // 00000000F9C4: BF0A4252
	s_cselect_b32 s21, s36, s60                                // 00000000F9C8: 85153C24
	s_mov_b64 exec, s[20:21]                                   // 00000000F9CC: BEFE0114
	global_atomic_add_f32 v6, v189, s[8:9]                     // 00000000F9D0: DD348000 0008BD06
	global_atomic_add_f32 v6, v193, s[8:9] offset:256          // 00000000F9D8: DD348100 0008C106
	s_mov_b64 exec, s[36:37]                                   // 00000000F9E0: BEFE0124
	v_mov_b32_e32 v6, v74                                      // 00000000F9E4: 7E0C034A
	s_mov_b64 s[60:61], 0                                      // 00000000F9E8: BEBC0180
	v_readlane_b32 s82, v3, 20                                 // 00000000F9EC: D2890052 00012903
	s_and_b32 s82, s82, 0xffffff                               // 00000000F9F4: 8652FF52 00FFFFFF
	s_cmp_lt_u32 s82, s66                                      // 00000000F9FC: BF0A4252
	s_cselect_b32 s20, s36, s60                                // 00000000FA00: 85143C24
	v_readlane_b32 s82, v3, 21                                 // 00000000FA04: D2890052 00012B03
	s_and_b32 s82, s82, 0xffffff                               // 00000000FA0C: 8652FF52 00FFFFFF
	s_cmp_lt_u32 s82, s66                                      // 00000000FA14: BF0A4252
	s_cselect_b32 s21, s36, s60                                // 00000000FA18: 85153C24
	s_mov_b64 exec, s[20:21]                                   // 00000000FA1C: BEFE0114
	global_atomic_add_f32 v6, v196, s[8:9]                     // 00000000FA20: DD348000 0008C406
	global_atomic_add_f32 v6, v200, s[8:9] offset:256          // 00000000FA28: DD348100 0008C806
	s_mov_b64 exec, s[36:37]                                   // 00000000FA30: BEFE0124
	v_mov_b32_e32 v6, v75                                      // 00000000FA34: 7E0C034B
	s_mov_b64 s[60:61], 0                                      // 00000000FA38: BEBC0180
	v_readlane_b32 s82, v3, 22                                 // 00000000FA3C: D2890052 00012D03
	s_and_b32 s82, s82, 0xffffff                               // 00000000FA44: 8652FF52 00FFFFFF
	s_cmp_lt_u32 s82, s66                                      // 00000000FA4C: BF0A4252
	s_cselect_b32 s20, s36, s60                                // 00000000FA50: 85143C24
	v_readlane_b32 s82, v3, 23                                 // 00000000FA54: D2890052 00012F03
	s_and_b32 s82, s82, 0xffffff                               // 00000000FA5C: 8652FF52 00FFFFFF
	s_cmp_lt_u32 s82, s66                                      // 00000000FA64: BF0A4252
	s_cselect_b32 s21, s36, s60                                // 00000000FA68: 85153C24
	s_mov_b64 exec, s[20:21]                                   // 00000000FA6C: BEFE0114
	global_atomic_add_f32 v6, v197, s[8:9]                     // 00000000FA70: DD348000 0008C506
	global_atomic_add_f32 v6, v201, s[8:9] offset:256          // 00000000FA78: DD348100 0008C906
	s_mov_b64 exec, s[36:37]                                   // 00000000FA80: BEFE0124
	v_mov_b32_e32 v6, v76                                      // 00000000FA84: 7E0C034C
	s_mov_b64 s[60:61], 0                                      // 00000000FA88: BEBC0180
	v_readlane_b32 s82, v3, 24                                 // 00000000FA8C: D2890052 00013103
	s_and_b32 s82, s82, 0xffffff                               // 00000000FA94: 8652FF52 00FFFFFF
	s_cmp_lt_u32 s82, s66                                      // 00000000FA9C: BF0A4252
	s_cselect_b32 s20, s36, s60                                // 00000000FAA0: 85143C24
	v_readlane_b32 s82, v3, 25                                 // 00000000FAA4: D2890052 00013303
	s_and_b32 s82, s82, 0xffffff                               // 00000000FAAC: 8652FF52 00FFFFFF
	s_cmp_lt_u32 s82, s66                                      // 00000000FAB4: BF0A4252
	s_cselect_b32 s21, s36, s60                                // 00000000FAB8: 85153C24
	s_mov_b64 exec, s[20:21]                                   // 00000000FABC: BEFE0114
	global_atomic_add_f32 v6, v204, s[8:9]                     // 00000000FAC0: DD348000 0008CC06
	global_atomic_add_f32 v6, v208, s[8:9] offset:256          // 00000000FAC8: DD348100 0008D006
	s_mov_b64 exec, s[36:37]                                   // 00000000FAD0: BEFE0124
	v_mov_b32_e32 v6, v77                                      // 00000000FAD4: 7E0C034D
	s_mov_b64 s[60:61], 0                                      // 00000000FAD8: BEBC0180
	v_readlane_b32 s82, v3, 26                                 // 00000000FADC: D2890052 00013503
	s_and_b32 s82, s82, 0xffffff                               // 00000000FAE4: 8652FF52 00FFFFFF
	s_cmp_lt_u32 s82, s66                                      // 00000000FAEC: BF0A4252
	s_cselect_b32 s20, s36, s60                                // 00000000FAF0: 85143C24
	v_readlane_b32 s82, v3, 27                                 // 00000000FAF4: D2890052 00013703
	s_and_b32 s82, s82, 0xffffff                               // 00000000FAFC: 8652FF52 00FFFFFF
	s_cmp_lt_u32 s82, s66                                      // 00000000FB04: BF0A4252
	s_cselect_b32 s21, s36, s60                                // 00000000FB08: 85153C24
	s_mov_b64 exec, s[20:21]                                   // 00000000FB0C: BEFE0114
	global_atomic_add_f32 v6, v205, s[8:9]                     // 00000000FB10: DD348000 0008CD06
	global_atomic_add_f32 v6, v209, s[8:9] offset:256          // 00000000FB18: DD348100 0008D106
	s_mov_b64 exec, s[36:37]                                   // 00000000FB20: BEFE0124
	v_mov_b32_e32 v6, v78                                      // 00000000FB24: 7E0C034E
	s_mov_b64 s[60:61], 0                                      // 00000000FB28: BEBC0180
	v_readlane_b32 s82, v3, 28                                 // 00000000FB2C: D2890052 00013903
	s_and_b32 s82, s82, 0xffffff                               // 00000000FB34: 8652FF52 00FFFFFF
	s_cmp_lt_u32 s82, s66                                      // 00000000FB3C: BF0A4252
	s_cselect_b32 s20, s36, s60                                // 00000000FB40: 85143C24
	v_readlane_b32 s82, v3, 29                                 // 00000000FB44: D2890052 00013B03
	s_and_b32 s82, s82, 0xffffff                               // 00000000FB4C: 8652FF52 00FFFFFF
	s_cmp_lt_u32 s82, s66                                      // 00000000FB54: BF0A4252
	s_cselect_b32 s21, s36, s60                                // 00000000FB58: 85153C24
	s_mov_b64 exec, s[20:21]                                   // 00000000FB5C: BEFE0114
	global_atomic_add_f32 v6, v212, s[8:9]                     // 00000000FB60: DD348000 0008D406
	global_atomic_add_f32 v6, v216, s[8:9] offset:256          // 00000000FB68: DD348100 0008D806
	s_mov_b64 exec, s[36:37]                                   // 00000000FB70: BEFE0124
	v_mov_b32_e32 v6, v79                                      // 00000000FB74: 7E0C034F
	s_mov_b64 s[60:61], 0                                      // 00000000FB78: BEBC0180
	v_readlane_b32 s82, v3, 30                                 // 00000000FB7C: D2890052 00013D03
	s_and_b32 s82, s82, 0xffffff                               // 00000000FB84: 8652FF52 00FFFFFF
	s_cmp_lt_u32 s82, s66                                      // 00000000FB8C: BF0A4252
	s_cselect_b32 s20, s36, s60                                // 00000000FB90: 85143C24
	v_readlane_b32 s82, v3, 31                                 // 00000000FB94: D2890052 00013F03
	s_and_b32 s82, s82, 0xffffff                               // 00000000FB9C: 8652FF52 00FFFFFF
	s_cmp_lt_u32 s82, s66                                      // 00000000FBA4: BF0A4252
	s_cselect_b32 s21, s36, s60                                // 00000000FBA8: 85153C24
	s_mov_b64 exec, s[20:21]                                   // 00000000FBAC: BEFE0114
	global_atomic_add_f32 v6, v213, s[8:9]                     // 00000000FBB0: DD348000 0008D506
	global_atomic_add_f32 v6, v217, s[8:9] offset:256          // 00000000FBB8: DD348100 0008D906
	s_mov_b64 exec, s[36:37]                                   // 00000000FBC0: BEFE0124
	v_mov_b32_e32 v6, v80                                      // 00000000FBC4: 7E0C0350
	s_mov_b64 s[60:61], 0                                      // 00000000FBC8: BEBC0180
	v_readlane_b32 s82, v3, 32                                 // 00000000FBCC: D2890052 00014103
	s_and_b32 s82, s82, 0xffffff                               // 00000000FBD4: 8652FF52 00FFFFFF
	s_cmp_lt_u32 s82, s66                                      // 00000000FBDC: BF0A4252
	s_cselect_b32 s20, s36, s60                                // 00000000FBE0: 85143C24
	v_readlane_b32 s82, v3, 33                                 // 00000000FBE4: D2890052 00014303
	s_and_b32 s82, s82, 0xffffff                               // 00000000FBEC: 8652FF52 00FFFFFF
	s_cmp_lt_u32 s82, s66                                      // 00000000FBF4: BF0A4252
	s_cselect_b32 s21, s36, s60                                // 00000000FBF8: 85153C24
	s_mov_b64 exec, s[20:21]                                   // 00000000FBFC: BEFE0114
	global_atomic_add_f32 v6, v220, s[8:9]                     // 00000000FC00: DD348000 0008DC06
	global_atomic_add_f32 v6, v224, s[8:9] offset:256          // 00000000FC08: DD348100 0008E006
	s_mov_b64 exec, s[36:37]                                   // 00000000FC10: BEFE0124
	v_mov_b32_e32 v6, v81                                      // 00000000FC14: 7E0C0351
	s_mov_b64 s[60:61], 0                                      // 00000000FC18: BEBC0180
	v_readlane_b32 s82, v3, 34                                 // 00000000FC1C: D2890052 00014503
	s_and_b32 s82, s82, 0xffffff                               // 00000000FC24: 8652FF52 00FFFFFF
	s_cmp_lt_u32 s82, s66                                      // 00000000FC2C: BF0A4252
	s_cselect_b32 s20, s36, s60                                // 00000000FC30: 85143C24
	v_readlane_b32 s82, v3, 35                                 // 00000000FC34: D2890052 00014703
	s_and_b32 s82, s82, 0xffffff                               // 00000000FC3C: 8652FF52 00FFFFFF
	s_cmp_lt_u32 s82, s66                                      // 00000000FC44: BF0A4252
	s_cselect_b32 s21, s36, s60                                // 00000000FC48: 85153C24
	s_mov_b64 exec, s[20:21]                                   // 00000000FC4C: BEFE0114
	global_atomic_add_f32 v6, v221, s[8:9]                     // 00000000FC50: DD348000 0008DD06
	global_atomic_add_f32 v6, v225, s[8:9] offset:256          // 00000000FC58: DD348100 0008E106
	s_mov_b64 exec, s[36:37]                                   // 00000000FC60: BEFE0124
	ds_write_b64 v20, v[158:159]                               // 00000000FC64: D89A0000 00009E14
	ds_write_b64 v20, v[162:163] offset:4352                   // 00000000FC6C: D89A1100 0000A214
	ds_write_b64 v20, v[166:167] offset:8704                   // 00000000FC74: D89A2200 0000A614
	ds_write_b64 v20, v[170:171] offset:13056                  // 00000000FC7C: D89A3300 0000AA14
	ds_write_b64 v20, v[174:175] offset:17408                  // 00000000FC84: D89A4400 0000AE14
	ds_write_b64 v20, v[178:179] offset:21760                  // 00000000FC8C: D89A5500 0000B214
	ds_write_b64 v20, v[182:183] offset:26112                  // 00000000FC94: D89A6600 0000B614
	ds_write_b64 v20, v[186:187] offset:30464                  // 00000000FC9C: D89A7700 0000BA14
	ds_write_b64 v20, v[190:191] offset:34816                  // 00000000FCA4: D89A8800 0000BE14
	ds_write_b64 v20, v[194:195] offset:2176                   // 00000000FCAC: D89A0880 0000C214
	ds_write_b64 v20, v[198:199] offset:6528                   // 00000000FCB4: D89A1980 0000C614
	ds_write_b64 v20, v[202:203] offset:10880                  // 00000000FCBC: D89A2A80 0000CA14
	ds_write_b64 v20, v[206:207] offset:15232                  // 00000000FCC4: D89A3B80 0000CE14
	ds_write_b64 v20, v[210:211] offset:19584                  // 00000000FCCC: D89A4C80 0000D214
	ds_write_b64 v20, v[214:215] offset:23936                  // 00000000FCD4: D89A5D80 0000D614
	ds_write_b64 v20, v[218:219] offset:28288                  // 00000000FCDC: D89A6E80 0000DA14
	ds_write_b64 v20, v[222:223] offset:32640                  // 00000000FCE4: D89A7F80 0000DE14
	ds_write_b64 v20, v[226:227] offset:36992                  // 00000000FCEC: D89A9080 0000E214
	s_waitcnt lgkmcnt(0)                                       // 00000000FCF4: BF8CC07F
	s_barrier                                                  // 00000000FCF8: BF8A0000
	ds_read_b32 v158, v21                                      // 00000000FCFC: D86C0000 9E000015
	ds_read_b32 v159, v21 offset:64                            // 00000000FD04: D86C0040 9F000015
	ds_read_b32 v162, v21 offset:2176                          // 00000000FD0C: D86C0880 A2000015
	ds_read_b32 v163, v21 offset:2240                          // 00000000FD14: D86C08C0 A3000015
	ds_read_b32 v166, v21 offset:4352                          // 00000000FD1C: D86C1100 A6000015
	ds_read_b32 v167, v21 offset:4416                          // 00000000FD24: D86C1140 A7000015
	ds_read_b32 v170, v21 offset:6528                          // 00000000FD2C: D86C1980 AA000015
	ds_read_b32 v171, v21 offset:6592                          // 00000000FD34: D86C19C0 AB000015
	ds_read_b32 v174, v21 offset:8704                          // 00000000FD3C: D86C2200 AE000015
	ds_read_b32 v175, v21 offset:8768                          // 00000000FD44: D86C2240 AF000015
	ds_read_b32 v178, v21 offset:10880                         // 00000000FD4C: D86C2A80 B2000015
	ds_read_b32 v179, v21 offset:10944                         // 00000000FD54: D86C2AC0 B3000015
	ds_read_b32 v182, v21 offset:13056                         // 00000000FD5C: D86C3300 B6000015
	ds_read_b32 v183, v21 offset:13120                         // 00000000FD64: D86C3340 B7000015
	ds_read_b32 v186, v21 offset:15232                         // 00000000FD6C: D86C3B80 BA000015
	ds_read_b32 v187, v21 offset:15296                         // 00000000FD74: D86C3BC0 BB000015
	ds_read_b32 v190, v21 offset:17408                         // 00000000FD7C: D86C4400 BE000015
	ds_read_b32 v191, v21 offset:17472                         // 00000000FD84: D86C4440 BF000015
	ds_read_b32 v194, v21 offset:19584                         // 00000000FD8C: D86C4C80 C2000015
	ds_read_b32 v195, v21 offset:19648                         // 00000000FD94: D86C4CC0 C3000015
	ds_read_b32 v198, v21 offset:21760                         // 00000000FD9C: D86C5500 C6000015
	ds_read_b32 v199, v21 offset:21824                         // 00000000FDA4: D86C5540 C7000015
	ds_read_b32 v202, v21 offset:23936                         // 00000000FDAC: D86C5D80 CA000015
	ds_read_b32 v203, v21 offset:24000                         // 00000000FDB4: D86C5DC0 CB000015
	ds_read_b32 v206, v21 offset:26112                         // 00000000FDBC: D86C6600 CE000015
	ds_read_b32 v207, v21 offset:26176                         // 00000000FDC4: D86C6640 CF000015
	ds_read_b32 v210, v21 offset:28288                         // 00000000FDCC: D86C6E80 D2000015
	ds_read_b32 v211, v21 offset:28352                         // 00000000FDD4: D86C6EC0 D3000015
	ds_read_b32 v214, v21 offset:30464                         // 00000000FDDC: D86C7700 D6000015
	ds_read_b32 v215, v21 offset:30528                         // 00000000FDE4: D86C7740 D7000015
	ds_read_b32 v218, v21 offset:32640                         // 00000000FDEC: D86C7F80 DA000015
	ds_read_b32 v219, v21 offset:32704                         // 00000000FDF4: D86C7FC0 DB000015
	ds_read_b32 v222, v21 offset:34816                         // 00000000FDFC: D86C8800 DE000015
	ds_read_b32 v223, v21 offset:34880                         // 00000000FE04: D86C8840 DF000015
	ds_read_b32 v226, v21 offset:36992                         // 00000000FE0C: D86C9080 E2000015
	ds_read_b32 v227, v21 offset:37056                         // 00000000FE14: D86C90C0 E3000015
	s_waitcnt lgkmcnt(0)                                       // 00000000FE1C: BF8CC07F
	v_mov_b32_e32 v7, 0                                        // 00000000FE20: 7E0E0280
	s_mov_b64 exec, s[36:37]                                   // 00000000FE24: BEFE0124
	v_mov_b32_e32 v6, v64                                      // 00000000FE28: 7E0C0340
	s_mov_b64 s[60:61], 0                                      // 00000000FE2C: BEBC0180
	v_readlane_b32 s82, v3, 0                                  // 00000000FE30: D2890052 00010103
	s_and_b32 s82, s82, 0xffffff                               // 00000000FE38: 8652FF52 00FFFFFF
	s_cmp_lt_u32 s82, s66                                      // 00000000FE40: BF0A4252
	s_cselect_b32 s20, s36, s60                                // 00000000FE44: 85143C24
	v_readlane_b32 s82, v3, 1                                  // 00000000FE48: D2890052 00010303
	s_and_b32 s82, s82, 0xffffff                               // 00000000FE50: 8652FF52 00FFFFFF
	s_cmp_lt_u32 s82, s66                                      // 00000000FE58: BF0A4252
	s_cselect_b32 s21, s36, s60                                // 00000000FE5C: 85153C24
	s_mov_b64 exec, s[20:21]                                   // 00000000FE60: BEFE0114
	global_atomic_add_f32 v6, v158, s[8:9] offset:8            // 00000000FE64: DD348008 00089E06
	global_atomic_add_f32 v6, v162, s[8:9] offset:264          // 00000000FE6C: DD348108 0008A206
	s_mov_b64 exec, s[36:37]                                   // 00000000FE74: BEFE0124
	v_mov_b32_e32 v6, v65                                      // 00000000FE78: 7E0C0341
	s_mov_b64 s[60:61], 0                                      // 00000000FE7C: BEBC0180
	v_readlane_b32 s82, v3, 2                                  // 00000000FE80: D2890052 00010503
	s_and_b32 s82, s82, 0xffffff                               // 00000000FE88: 8652FF52 00FFFFFF
	s_cmp_lt_u32 s82, s66                                      // 00000000FE90: BF0A4252
	s_cselect_b32 s20, s36, s60                                // 00000000FE94: 85143C24
	v_readlane_b32 s82, v3, 3                                  // 00000000FE98: D2890052 00010703
	s_and_b32 s82, s82, 0xffffff                               // 00000000FEA0: 8652FF52 00FFFFFF
	s_cmp_lt_u32 s82, s66                                      // 00000000FEA8: BF0A4252
	s_cselect_b32 s21, s36, s60                                // 00000000FEAC: 85153C24
	s_mov_b64 exec, s[20:21]                                   // 00000000FEB0: BEFE0114
	global_atomic_add_f32 v6, v159, s[8:9] offset:8            // 00000000FEB4: DD348008 00089F06
	global_atomic_add_f32 v6, v163, s[8:9] offset:264          // 00000000FEBC: DD348108 0008A306
	s_mov_b64 exec, s[36:37]                                   // 00000000FEC4: BEFE0124
	v_mov_b32_e32 v6, v66                                      // 00000000FEC8: 7E0C0342
	s_mov_b64 s[60:61], 0                                      // 00000000FECC: BEBC0180
	v_readlane_b32 s82, v3, 4                                  // 00000000FED0: D2890052 00010903
	s_and_b32 s82, s82, 0xffffff                               // 00000000FED8: 8652FF52 00FFFFFF
	s_cmp_lt_u32 s82, s66                                      // 00000000FEE0: BF0A4252
	s_cselect_b32 s20, s36, s60                                // 00000000FEE4: 85143C24
	v_readlane_b32 s82, v3, 5                                  // 00000000FEE8: D2890052 00010B03
	s_and_b32 s82, s82, 0xffffff                               // 00000000FEF0: 8652FF52 00FFFFFF
	s_cmp_lt_u32 s82, s66                                      // 00000000FEF8: BF0A4252
	s_cselect_b32 s21, s36, s60                                // 00000000FEFC: 85153C24
	s_mov_b64 exec, s[20:21]                                   // 00000000FF00: BEFE0114
	global_atomic_add_f32 v6, v166, s[8:9] offset:8            // 00000000FF04: DD348008 0008A606
	global_atomic_add_f32 v6, v170, s[8:9] offset:264          // 00000000FF0C: DD348108 0008AA06
	s_mov_b64 exec, s[36:37]                                   // 00000000FF14: BEFE0124
	v_mov_b32_e32 v6, v67                                      // 00000000FF18: 7E0C0343
	s_mov_b64 s[60:61], 0                                      // 00000000FF1C: BEBC0180
	v_readlane_b32 s82, v3, 6                                  // 00000000FF20: D2890052 00010D03
	s_and_b32 s82, s82, 0xffffff                               // 00000000FF28: 8652FF52 00FFFFFF
	s_cmp_lt_u32 s82, s66                                      // 00000000FF30: BF0A4252
	s_cselect_b32 s20, s36, s60                                // 00000000FF34: 85143C24
	v_readlane_b32 s82, v3, 7                                  // 00000000FF38: D2890052 00010F03
	s_and_b32 s82, s82, 0xffffff                               // 00000000FF40: 8652FF52 00FFFFFF
	s_cmp_lt_u32 s82, s66                                      // 00000000FF48: BF0A4252
	s_cselect_b32 s21, s36, s60                                // 00000000FF4C: 85153C24
	s_mov_b64 exec, s[20:21]                                   // 00000000FF50: BEFE0114
	global_atomic_add_f32 v6, v167, s[8:9] offset:8            // 00000000FF54: DD348008 0008A706
	global_atomic_add_f32 v6, v171, s[8:9] offset:264          // 00000000FF5C: DD348108 0008AB06
	s_mov_b64 exec, s[36:37]                                   // 00000000FF64: BEFE0124
	v_mov_b32_e32 v6, v68                                      // 00000000FF68: 7E0C0344
	s_mov_b64 s[60:61], 0                                      // 00000000FF6C: BEBC0180
	v_readlane_b32 s82, v3, 8                                  // 00000000FF70: D2890052 00011103
	s_and_b32 s82, s82, 0xffffff                               // 00000000FF78: 8652FF52 00FFFFFF
	s_cmp_lt_u32 s82, s66                                      // 00000000FF80: BF0A4252
	s_cselect_b32 s20, s36, s60                                // 00000000FF84: 85143C24
	v_readlane_b32 s82, v3, 9                                  // 00000000FF88: D2890052 00011303
	s_and_b32 s82, s82, 0xffffff                               // 00000000FF90: 8652FF52 00FFFFFF
	s_cmp_lt_u32 s82, s66                                      // 00000000FF98: BF0A4252
	s_cselect_b32 s21, s36, s60                                // 00000000FF9C: 85153C24
	s_mov_b64 exec, s[20:21]                                   // 00000000FFA0: BEFE0114
	global_atomic_add_f32 v6, v174, s[8:9] offset:8            // 00000000FFA4: DD348008 0008AE06
	global_atomic_add_f32 v6, v178, s[8:9] offset:264          // 00000000FFAC: DD348108 0008B206
	s_mov_b64 exec, s[36:37]                                   // 00000000FFB4: BEFE0124
	v_mov_b32_e32 v6, v69                                      // 00000000FFB8: 7E0C0345
	s_mov_b64 s[60:61], 0                                      // 00000000FFBC: BEBC0180
	v_readlane_b32 s82, v3, 10                                 // 00000000FFC0: D2890052 00011503
	s_and_b32 s82, s82, 0xffffff                               // 00000000FFC8: 8652FF52 00FFFFFF
	s_cmp_lt_u32 s82, s66                                      // 00000000FFD0: BF0A4252
	s_cselect_b32 s20, s36, s60                                // 00000000FFD4: 85143C24
	v_readlane_b32 s82, v3, 11                                 // 00000000FFD8: D2890052 00011703
	s_and_b32 s82, s82, 0xffffff                               // 00000000FFE0: 8652FF52 00FFFFFF
	s_cmp_lt_u32 s82, s66                                      // 00000000FFE8: BF0A4252
	s_cselect_b32 s21, s36, s60                                // 00000000FFEC: 85153C24
	s_mov_b64 exec, s[20:21]                                   // 00000000FFF0: BEFE0114
	global_atomic_add_f32 v6, v175, s[8:9] offset:8            // 00000000FFF4: DD348008 0008AF06
	global_atomic_add_f32 v6, v179, s[8:9] offset:264          // 00000000FFFC: DD348108 0008B306
	s_mov_b64 exec, s[36:37]                                   // 000000010004: BEFE0124
	v_mov_b32_e32 v6, v70                                      // 000000010008: 7E0C0346
	s_mov_b64 s[60:61], 0                                      // 00000001000C: BEBC0180
	v_readlane_b32 s82, v3, 12                                 // 000000010010: D2890052 00011903
	s_and_b32 s82, s82, 0xffffff                               // 000000010018: 8652FF52 00FFFFFF
	s_cmp_lt_u32 s82, s66                                      // 000000010020: BF0A4252
	s_cselect_b32 s20, s36, s60                                // 000000010024: 85143C24
	v_readlane_b32 s82, v3, 13                                 // 000000010028: D2890052 00011B03
	s_and_b32 s82, s82, 0xffffff                               // 000000010030: 8652FF52 00FFFFFF
	s_cmp_lt_u32 s82, s66                                      // 000000010038: BF0A4252
	s_cselect_b32 s21, s36, s60                                // 00000001003C: 85153C24
	s_mov_b64 exec, s[20:21]                                   // 000000010040: BEFE0114
	global_atomic_add_f32 v6, v182, s[8:9] offset:8            // 000000010044: DD348008 0008B606
	global_atomic_add_f32 v6, v186, s[8:9] offset:264          // 00000001004C: DD348108 0008BA06
	s_mov_b64 exec, s[36:37]                                   // 000000010054: BEFE0124
	v_mov_b32_e32 v6, v71                                      // 000000010058: 7E0C0347
	s_mov_b64 s[60:61], 0                                      // 00000001005C: BEBC0180
	v_readlane_b32 s82, v3, 14                                 // 000000010060: D2890052 00011D03
	s_and_b32 s82, s82, 0xffffff                               // 000000010068: 8652FF52 00FFFFFF
	s_cmp_lt_u32 s82, s66                                      // 000000010070: BF0A4252
	s_cselect_b32 s20, s36, s60                                // 000000010074: 85143C24
	v_readlane_b32 s82, v3, 15                                 // 000000010078: D2890052 00011F03
	s_and_b32 s82, s82, 0xffffff                               // 000000010080: 8652FF52 00FFFFFF
	s_cmp_lt_u32 s82, s66                                      // 000000010088: BF0A4252
	s_cselect_b32 s21, s36, s60                                // 00000001008C: 85153C24
	s_mov_b64 exec, s[20:21]                                   // 000000010090: BEFE0114
	global_atomic_add_f32 v6, v183, s[8:9] offset:8            // 000000010094: DD348008 0008B706
	global_atomic_add_f32 v6, v187, s[8:9] offset:264          // 00000001009C: DD348108 0008BB06
	s_mov_b64 exec, s[36:37]                                   // 0000000100A4: BEFE0124
	v_mov_b32_e32 v6, v72                                      // 0000000100A8: 7E0C0348
	s_mov_b64 s[60:61], 0                                      // 0000000100AC: BEBC0180
	v_readlane_b32 s82, v3, 16                                 // 0000000100B0: D2890052 00012103
	s_and_b32 s82, s82, 0xffffff                               // 0000000100B8: 8652FF52 00FFFFFF
	s_cmp_lt_u32 s82, s66                                      // 0000000100C0: BF0A4252
	s_cselect_b32 s20, s36, s60                                // 0000000100C4: 85143C24
	v_readlane_b32 s82, v3, 17                                 // 0000000100C8: D2890052 00012303
	s_and_b32 s82, s82, 0xffffff                               // 0000000100D0: 8652FF52 00FFFFFF
	s_cmp_lt_u32 s82, s66                                      // 0000000100D8: BF0A4252
	s_cselect_b32 s21, s36, s60                                // 0000000100DC: 85153C24
	s_mov_b64 exec, s[20:21]                                   // 0000000100E0: BEFE0114
	global_atomic_add_f32 v6, v190, s[8:9] offset:8            // 0000000100E4: DD348008 0008BE06
	global_atomic_add_f32 v6, v194, s[8:9] offset:264          // 0000000100EC: DD348108 0008C206
	s_mov_b64 exec, s[36:37]                                   // 0000000100F4: BEFE0124
	v_mov_b32_e32 v6, v73                                      // 0000000100F8: 7E0C0349
	s_mov_b64 s[60:61], 0                                      // 0000000100FC: BEBC0180
	v_readlane_b32 s82, v3, 18                                 // 000000010100: D2890052 00012503
	s_and_b32 s82, s82, 0xffffff                               // 000000010108: 8652FF52 00FFFFFF
	s_cmp_lt_u32 s82, s66                                      // 000000010110: BF0A4252
	s_cselect_b32 s20, s36, s60                                // 000000010114: 85143C24
	v_readlane_b32 s82, v3, 19                                 // 000000010118: D2890052 00012703
	s_and_b32 s82, s82, 0xffffff                               // 000000010120: 8652FF52 00FFFFFF
	s_cmp_lt_u32 s82, s66                                      // 000000010128: BF0A4252
	s_cselect_b32 s21, s36, s60                                // 00000001012C: 85153C24
	s_mov_b64 exec, s[20:21]                                   // 000000010130: BEFE0114
	global_atomic_add_f32 v6, v191, s[8:9] offset:8            // 000000010134: DD348008 0008BF06
	global_atomic_add_f32 v6, v195, s[8:9] offset:264          // 00000001013C: DD348108 0008C306
	s_mov_b64 exec, s[36:37]                                   // 000000010144: BEFE0124
	v_mov_b32_e32 v6, v74                                      // 000000010148: 7E0C034A
	s_mov_b64 s[60:61], 0                                      // 00000001014C: BEBC0180
	v_readlane_b32 s82, v3, 20                                 // 000000010150: D2890052 00012903
	s_and_b32 s82, s82, 0xffffff                               // 000000010158: 8652FF52 00FFFFFF
	s_cmp_lt_u32 s82, s66                                      // 000000010160: BF0A4252
	s_cselect_b32 s20, s36, s60                                // 000000010164: 85143C24
	v_readlane_b32 s82, v3, 21                                 // 000000010168: D2890052 00012B03
	s_and_b32 s82, s82, 0xffffff                               // 000000010170: 8652FF52 00FFFFFF
	s_cmp_lt_u32 s82, s66                                      // 000000010178: BF0A4252
	s_cselect_b32 s21, s36, s60                                // 00000001017C: 85153C24
	s_mov_b64 exec, s[20:21]                                   // 000000010180: BEFE0114
	global_atomic_add_f32 v6, v198, s[8:9] offset:8            // 000000010184: DD348008 0008C606
	global_atomic_add_f32 v6, v202, s[8:9] offset:264          // 00000001018C: DD348108 0008CA06
	s_mov_b64 exec, s[36:37]                                   // 000000010194: BEFE0124
	v_mov_b32_e32 v6, v75                                      // 000000010198: 7E0C034B
	s_mov_b64 s[60:61], 0                                      // 00000001019C: BEBC0180
	v_readlane_b32 s82, v3, 22                                 // 0000000101A0: D2890052 00012D03
	s_and_b32 s82, s82, 0xffffff                               // 0000000101A8: 8652FF52 00FFFFFF
	s_cmp_lt_u32 s82, s66                                      // 0000000101B0: BF0A4252
	s_cselect_b32 s20, s36, s60                                // 0000000101B4: 85143C24
	v_readlane_b32 s82, v3, 23                                 // 0000000101B8: D2890052 00012F03
	s_and_b32 s82, s82, 0xffffff                               // 0000000101C0: 8652FF52 00FFFFFF
	s_cmp_lt_u32 s82, s66                                      // 0000000101C8: BF0A4252
	s_cselect_b32 s21, s36, s60                                // 0000000101CC: 85153C24
	s_mov_b64 exec, s[20:21]                                   // 0000000101D0: BEFE0114
	global_atomic_add_f32 v6, v199, s[8:9] offset:8            // 0000000101D4: DD348008 0008C706
	global_atomic_add_f32 v6, v203, s[8:9] offset:264          // 0000000101DC: DD348108 0008CB06
	s_mov_b64 exec, s[36:37]                                   // 0000000101E4: BEFE0124
	v_mov_b32_e32 v6, v76                                      // 0000000101E8: 7E0C034C
	s_mov_b64 s[60:61], 0                                      // 0000000101EC: BEBC0180
	v_readlane_b32 s82, v3, 24                                 // 0000000101F0: D2890052 00013103
	s_and_b32 s82, s82, 0xffffff                               // 0000000101F8: 8652FF52 00FFFFFF
	s_cmp_lt_u32 s82, s66                                      // 000000010200: BF0A4252
	s_cselect_b32 s20, s36, s60                                // 000000010204: 85143C24
	v_readlane_b32 s82, v3, 25                                 // 000000010208: D2890052 00013303
	s_and_b32 s82, s82, 0xffffff                               // 000000010210: 8652FF52 00FFFFFF
	s_cmp_lt_u32 s82, s66                                      // 000000010218: BF0A4252
	s_cselect_b32 s21, s36, s60                                // 00000001021C: 85153C24
	s_mov_b64 exec, s[20:21]                                   // 000000010220: BEFE0114
	global_atomic_add_f32 v6, v206, s[8:9] offset:8            // 000000010224: DD348008 0008CE06
	global_atomic_add_f32 v6, v210, s[8:9] offset:264          // 00000001022C: DD348108 0008D206
	s_mov_b64 exec, s[36:37]                                   // 000000010234: BEFE0124
	v_mov_b32_e32 v6, v77                                      // 000000010238: 7E0C034D
	s_mov_b64 s[60:61], 0                                      // 00000001023C: BEBC0180
	v_readlane_b32 s82, v3, 26                                 // 000000010240: D2890052 00013503
	s_and_b32 s82, s82, 0xffffff                               // 000000010248: 8652FF52 00FFFFFF
	s_cmp_lt_u32 s82, s66                                      // 000000010250: BF0A4252
	s_cselect_b32 s20, s36, s60                                // 000000010254: 85143C24
	v_readlane_b32 s82, v3, 27                                 // 000000010258: D2890052 00013703
	s_and_b32 s82, s82, 0xffffff                               // 000000010260: 8652FF52 00FFFFFF
	s_cmp_lt_u32 s82, s66                                      // 000000010268: BF0A4252
	s_cselect_b32 s21, s36, s60                                // 00000001026C: 85153C24
	s_mov_b64 exec, s[20:21]                                   // 000000010270: BEFE0114
	global_atomic_add_f32 v6, v207, s[8:9] offset:8            // 000000010274: DD348008 0008CF06
	global_atomic_add_f32 v6, v211, s[8:9] offset:264          // 00000001027C: DD348108 0008D306
	s_mov_b64 exec, s[36:37]                                   // 000000010284: BEFE0124
	v_mov_b32_e32 v6, v78                                      // 000000010288: 7E0C034E
	s_mov_b64 s[60:61], 0                                      // 00000001028C: BEBC0180
	v_readlane_b32 s82, v3, 28                                 // 000000010290: D2890052 00013903
	s_and_b32 s82, s82, 0xffffff                               // 000000010298: 8652FF52 00FFFFFF
	s_cmp_lt_u32 s82, s66                                      // 0000000102A0: BF0A4252
	s_cselect_b32 s20, s36, s60                                // 0000000102A4: 85143C24
	v_readlane_b32 s82, v3, 29                                 // 0000000102A8: D2890052 00013B03
	s_and_b32 s82, s82, 0xffffff                               // 0000000102B0: 8652FF52 00FFFFFF
	s_cmp_lt_u32 s82, s66                                      // 0000000102B8: BF0A4252
	s_cselect_b32 s21, s36, s60                                // 0000000102BC: 85153C24
	s_mov_b64 exec, s[20:21]                                   // 0000000102C0: BEFE0114
	global_atomic_add_f32 v6, v214, s[8:9] offset:8            // 0000000102C4: DD348008 0008D606
	global_atomic_add_f32 v6, v218, s[8:9] offset:264          // 0000000102CC: DD348108 0008DA06
	s_mov_b64 exec, s[36:37]                                   // 0000000102D4: BEFE0124
	v_mov_b32_e32 v6, v79                                      // 0000000102D8: 7E0C034F
	s_mov_b64 s[60:61], 0                                      // 0000000102DC: BEBC0180
	v_readlane_b32 s82, v3, 30                                 // 0000000102E0: D2890052 00013D03
	s_and_b32 s82, s82, 0xffffff                               // 0000000102E8: 8652FF52 00FFFFFF
	s_cmp_lt_u32 s82, s66                                      // 0000000102F0: BF0A4252
	s_cselect_b32 s20, s36, s60                                // 0000000102F4: 85143C24
	v_readlane_b32 s82, v3, 31                                 // 0000000102F8: D2890052 00013F03
	s_and_b32 s82, s82, 0xffffff                               // 000000010300: 8652FF52 00FFFFFF
	s_cmp_lt_u32 s82, s66                                      // 000000010308: BF0A4252
	s_cselect_b32 s21, s36, s60                                // 00000001030C: 85153C24
	s_mov_b64 exec, s[20:21]                                   // 000000010310: BEFE0114
	global_atomic_add_f32 v6, v215, s[8:9] offset:8            // 000000010314: DD348008 0008D706
	global_atomic_add_f32 v6, v219, s[8:9] offset:264          // 00000001031C: DD348108 0008DB06
	s_mov_b64 exec, s[36:37]                                   // 000000010324: BEFE0124
	v_mov_b32_e32 v6, v80                                      // 000000010328: 7E0C0350
	s_mov_b64 s[60:61], 0                                      // 00000001032C: BEBC0180
	v_readlane_b32 s82, v3, 32                                 // 000000010330: D2890052 00014103
	s_and_b32 s82, s82, 0xffffff                               // 000000010338: 8652FF52 00FFFFFF
	s_cmp_lt_u32 s82, s66                                      // 000000010340: BF0A4252
	s_cselect_b32 s20, s36, s60                                // 000000010344: 85143C24
	v_readlane_b32 s82, v3, 33                                 // 000000010348: D2890052 00014303
	s_and_b32 s82, s82, 0xffffff                               // 000000010350: 8652FF52 00FFFFFF
	s_cmp_lt_u32 s82, s66                                      // 000000010358: BF0A4252
	s_cselect_b32 s21, s36, s60                                // 00000001035C: 85153C24
	s_mov_b64 exec, s[20:21]                                   // 000000010360: BEFE0114
	global_atomic_add_f32 v6, v222, s[8:9] offset:8            // 000000010364: DD348008 0008DE06
	global_atomic_add_f32 v6, v226, s[8:9] offset:264          // 00000001036C: DD348108 0008E206
	s_mov_b64 exec, s[36:37]                                   // 000000010374: BEFE0124
	v_mov_b32_e32 v6, v81                                      // 000000010378: 7E0C0351
	s_mov_b64 s[60:61], 0                                      // 00000001037C: BEBC0180
	v_readlane_b32 s82, v3, 34                                 // 000000010380: D2890052 00014503
	s_and_b32 s82, s82, 0xffffff                               // 000000010388: 8652FF52 00FFFFFF
	s_cmp_lt_u32 s82, s66                                      // 000000010390: BF0A4252
	s_cselect_b32 s20, s36, s60                                // 000000010394: 85143C24
	v_readlane_b32 s82, v3, 35                                 // 000000010398: D2890052 00014703
	s_and_b32 s82, s82, 0xffffff                               // 0000000103A0: 8652FF52 00FFFFFF
	s_cmp_lt_u32 s82, s66                                      // 0000000103A8: BF0A4252
	s_cselect_b32 s21, s36, s60                                // 0000000103AC: 85153C24
	s_mov_b64 exec, s[20:21]                                   // 0000000103B0: BEFE0114
	global_atomic_add_f32 v6, v223, s[8:9] offset:8            // 0000000103B4: DD348008 0008DF06
	global_atomic_add_f32 v6, v227, s[8:9] offset:264          // 0000000103BC: DD348108 0008E306
	s_mov_b64 exec, s[36:37]                                   // 0000000103C4: BEFE0124
	s_branch label_3676                                        // 0000000103C8: BF820000

00000000000103cc <label_3676>:
	s_waitcnt vmcnt(0) expcnt(0) lgkmcnt(0)                    // 0000000103CC: BF8C0000
	s_endpgm                                                   // 0000000103D0: BF810000
